;; amdgpu-corpus repo=ROCm/rocThrust kind=compiled arch=gfx1030 opt=O3
	.amdgcn_target "amdgcn-amd-amdhsa--gfx1030"
	.amdhsa_code_object_version 6
	.section	.text._ZN7rocprim17ROCPRIM_400000_NS6detail17trampoline_kernelINS0_14default_configENS1_22reduce_config_selectorIfEEZNS1_11reduce_implILb1ES3_PfS7_fN6thrust23THRUST_200600_302600_NS4plusIfEEEE10hipError_tPvRmT1_T2_T3_mT4_P12ihipStream_tbEUlT_E0_NS1_11comp_targetILNS1_3genE0ELNS1_11target_archE4294967295ELNS1_3gpuE0ELNS1_3repE0EEENS1_30default_config_static_selectorELNS0_4arch9wavefront6targetE0EEEvSF_,"axG",@progbits,_ZN7rocprim17ROCPRIM_400000_NS6detail17trampoline_kernelINS0_14default_configENS1_22reduce_config_selectorIfEEZNS1_11reduce_implILb1ES3_PfS7_fN6thrust23THRUST_200600_302600_NS4plusIfEEEE10hipError_tPvRmT1_T2_T3_mT4_P12ihipStream_tbEUlT_E0_NS1_11comp_targetILNS1_3genE0ELNS1_11target_archE4294967295ELNS1_3gpuE0ELNS1_3repE0EEENS1_30default_config_static_selectorELNS0_4arch9wavefront6targetE0EEEvSF_,comdat
	.protected	_ZN7rocprim17ROCPRIM_400000_NS6detail17trampoline_kernelINS0_14default_configENS1_22reduce_config_selectorIfEEZNS1_11reduce_implILb1ES3_PfS7_fN6thrust23THRUST_200600_302600_NS4plusIfEEEE10hipError_tPvRmT1_T2_T3_mT4_P12ihipStream_tbEUlT_E0_NS1_11comp_targetILNS1_3genE0ELNS1_11target_archE4294967295ELNS1_3gpuE0ELNS1_3repE0EEENS1_30default_config_static_selectorELNS0_4arch9wavefront6targetE0EEEvSF_ ; -- Begin function _ZN7rocprim17ROCPRIM_400000_NS6detail17trampoline_kernelINS0_14default_configENS1_22reduce_config_selectorIfEEZNS1_11reduce_implILb1ES3_PfS7_fN6thrust23THRUST_200600_302600_NS4plusIfEEEE10hipError_tPvRmT1_T2_T3_mT4_P12ihipStream_tbEUlT_E0_NS1_11comp_targetILNS1_3genE0ELNS1_11target_archE4294967295ELNS1_3gpuE0ELNS1_3repE0EEENS1_30default_config_static_selectorELNS0_4arch9wavefront6targetE0EEEvSF_
	.globl	_ZN7rocprim17ROCPRIM_400000_NS6detail17trampoline_kernelINS0_14default_configENS1_22reduce_config_selectorIfEEZNS1_11reduce_implILb1ES3_PfS7_fN6thrust23THRUST_200600_302600_NS4plusIfEEEE10hipError_tPvRmT1_T2_T3_mT4_P12ihipStream_tbEUlT_E0_NS1_11comp_targetILNS1_3genE0ELNS1_11target_archE4294967295ELNS1_3gpuE0ELNS1_3repE0EEENS1_30default_config_static_selectorELNS0_4arch9wavefront6targetE0EEEvSF_
	.p2align	8
	.type	_ZN7rocprim17ROCPRIM_400000_NS6detail17trampoline_kernelINS0_14default_configENS1_22reduce_config_selectorIfEEZNS1_11reduce_implILb1ES3_PfS7_fN6thrust23THRUST_200600_302600_NS4plusIfEEEE10hipError_tPvRmT1_T2_T3_mT4_P12ihipStream_tbEUlT_E0_NS1_11comp_targetILNS1_3genE0ELNS1_11target_archE4294967295ELNS1_3gpuE0ELNS1_3repE0EEENS1_30default_config_static_selectorELNS0_4arch9wavefront6targetE0EEEvSF_,@function
_ZN7rocprim17ROCPRIM_400000_NS6detail17trampoline_kernelINS0_14default_configENS1_22reduce_config_selectorIfEEZNS1_11reduce_implILb1ES3_PfS7_fN6thrust23THRUST_200600_302600_NS4plusIfEEEE10hipError_tPvRmT1_T2_T3_mT4_P12ihipStream_tbEUlT_E0_NS1_11comp_targetILNS1_3genE0ELNS1_11target_archE4294967295ELNS1_3gpuE0ELNS1_3repE0EEENS1_30default_config_static_selectorELNS0_4arch9wavefront6targetE0EEEvSF_: ; @_ZN7rocprim17ROCPRIM_400000_NS6detail17trampoline_kernelINS0_14default_configENS1_22reduce_config_selectorIfEEZNS1_11reduce_implILb1ES3_PfS7_fN6thrust23THRUST_200600_302600_NS4plusIfEEEE10hipError_tPvRmT1_T2_T3_mT4_P12ihipStream_tbEUlT_E0_NS1_11comp_targetILNS1_3genE0ELNS1_11target_archE4294967295ELNS1_3gpuE0ELNS1_3repE0EEENS1_30default_config_static_selectorELNS0_4arch9wavefront6targetE0EEEvSF_
; %bb.0:
	.section	.rodata,"a",@progbits
	.p2align	6, 0x0
	.amdhsa_kernel _ZN7rocprim17ROCPRIM_400000_NS6detail17trampoline_kernelINS0_14default_configENS1_22reduce_config_selectorIfEEZNS1_11reduce_implILb1ES3_PfS7_fN6thrust23THRUST_200600_302600_NS4plusIfEEEE10hipError_tPvRmT1_T2_T3_mT4_P12ihipStream_tbEUlT_E0_NS1_11comp_targetILNS1_3genE0ELNS1_11target_archE4294967295ELNS1_3gpuE0ELNS1_3repE0EEENS1_30default_config_static_selectorELNS0_4arch9wavefront6targetE0EEEvSF_
		.amdhsa_group_segment_fixed_size 0
		.amdhsa_private_segment_fixed_size 0
		.amdhsa_kernarg_size 56
		.amdhsa_user_sgpr_count 6
		.amdhsa_user_sgpr_private_segment_buffer 1
		.amdhsa_user_sgpr_dispatch_ptr 0
		.amdhsa_user_sgpr_queue_ptr 0
		.amdhsa_user_sgpr_kernarg_segment_ptr 1
		.amdhsa_user_sgpr_dispatch_id 0
		.amdhsa_user_sgpr_flat_scratch_init 0
		.amdhsa_user_sgpr_private_segment_size 0
		.amdhsa_wavefront_size32 1
		.amdhsa_uses_dynamic_stack 0
		.amdhsa_system_sgpr_private_segment_wavefront_offset 0
		.amdhsa_system_sgpr_workgroup_id_x 1
		.amdhsa_system_sgpr_workgroup_id_y 0
		.amdhsa_system_sgpr_workgroup_id_z 0
		.amdhsa_system_sgpr_workgroup_info 0
		.amdhsa_system_vgpr_workitem_id 0
		.amdhsa_next_free_vgpr 1
		.amdhsa_next_free_sgpr 1
		.amdhsa_reserve_vcc 0
		.amdhsa_reserve_flat_scratch 0
		.amdhsa_float_round_mode_32 0
		.amdhsa_float_round_mode_16_64 0
		.amdhsa_float_denorm_mode_32 3
		.amdhsa_float_denorm_mode_16_64 3
		.amdhsa_dx10_clamp 1
		.amdhsa_ieee_mode 1
		.amdhsa_fp16_overflow 0
		.amdhsa_workgroup_processor_mode 1
		.amdhsa_memory_ordered 1
		.amdhsa_forward_progress 1
		.amdhsa_shared_vgpr_count 0
		.amdhsa_exception_fp_ieee_invalid_op 0
		.amdhsa_exception_fp_denorm_src 0
		.amdhsa_exception_fp_ieee_div_zero 0
		.amdhsa_exception_fp_ieee_overflow 0
		.amdhsa_exception_fp_ieee_underflow 0
		.amdhsa_exception_fp_ieee_inexact 0
		.amdhsa_exception_int_div_zero 0
	.end_amdhsa_kernel
	.section	.text._ZN7rocprim17ROCPRIM_400000_NS6detail17trampoline_kernelINS0_14default_configENS1_22reduce_config_selectorIfEEZNS1_11reduce_implILb1ES3_PfS7_fN6thrust23THRUST_200600_302600_NS4plusIfEEEE10hipError_tPvRmT1_T2_T3_mT4_P12ihipStream_tbEUlT_E0_NS1_11comp_targetILNS1_3genE0ELNS1_11target_archE4294967295ELNS1_3gpuE0ELNS1_3repE0EEENS1_30default_config_static_selectorELNS0_4arch9wavefront6targetE0EEEvSF_,"axG",@progbits,_ZN7rocprim17ROCPRIM_400000_NS6detail17trampoline_kernelINS0_14default_configENS1_22reduce_config_selectorIfEEZNS1_11reduce_implILb1ES3_PfS7_fN6thrust23THRUST_200600_302600_NS4plusIfEEEE10hipError_tPvRmT1_T2_T3_mT4_P12ihipStream_tbEUlT_E0_NS1_11comp_targetILNS1_3genE0ELNS1_11target_archE4294967295ELNS1_3gpuE0ELNS1_3repE0EEENS1_30default_config_static_selectorELNS0_4arch9wavefront6targetE0EEEvSF_,comdat
.Lfunc_end0:
	.size	_ZN7rocprim17ROCPRIM_400000_NS6detail17trampoline_kernelINS0_14default_configENS1_22reduce_config_selectorIfEEZNS1_11reduce_implILb1ES3_PfS7_fN6thrust23THRUST_200600_302600_NS4plusIfEEEE10hipError_tPvRmT1_T2_T3_mT4_P12ihipStream_tbEUlT_E0_NS1_11comp_targetILNS1_3genE0ELNS1_11target_archE4294967295ELNS1_3gpuE0ELNS1_3repE0EEENS1_30default_config_static_selectorELNS0_4arch9wavefront6targetE0EEEvSF_, .Lfunc_end0-_ZN7rocprim17ROCPRIM_400000_NS6detail17trampoline_kernelINS0_14default_configENS1_22reduce_config_selectorIfEEZNS1_11reduce_implILb1ES3_PfS7_fN6thrust23THRUST_200600_302600_NS4plusIfEEEE10hipError_tPvRmT1_T2_T3_mT4_P12ihipStream_tbEUlT_E0_NS1_11comp_targetILNS1_3genE0ELNS1_11target_archE4294967295ELNS1_3gpuE0ELNS1_3repE0EEENS1_30default_config_static_selectorELNS0_4arch9wavefront6targetE0EEEvSF_
                                        ; -- End function
	.set _ZN7rocprim17ROCPRIM_400000_NS6detail17trampoline_kernelINS0_14default_configENS1_22reduce_config_selectorIfEEZNS1_11reduce_implILb1ES3_PfS7_fN6thrust23THRUST_200600_302600_NS4plusIfEEEE10hipError_tPvRmT1_T2_T3_mT4_P12ihipStream_tbEUlT_E0_NS1_11comp_targetILNS1_3genE0ELNS1_11target_archE4294967295ELNS1_3gpuE0ELNS1_3repE0EEENS1_30default_config_static_selectorELNS0_4arch9wavefront6targetE0EEEvSF_.num_vgpr, 0
	.set _ZN7rocprim17ROCPRIM_400000_NS6detail17trampoline_kernelINS0_14default_configENS1_22reduce_config_selectorIfEEZNS1_11reduce_implILb1ES3_PfS7_fN6thrust23THRUST_200600_302600_NS4plusIfEEEE10hipError_tPvRmT1_T2_T3_mT4_P12ihipStream_tbEUlT_E0_NS1_11comp_targetILNS1_3genE0ELNS1_11target_archE4294967295ELNS1_3gpuE0ELNS1_3repE0EEENS1_30default_config_static_selectorELNS0_4arch9wavefront6targetE0EEEvSF_.num_agpr, 0
	.set _ZN7rocprim17ROCPRIM_400000_NS6detail17trampoline_kernelINS0_14default_configENS1_22reduce_config_selectorIfEEZNS1_11reduce_implILb1ES3_PfS7_fN6thrust23THRUST_200600_302600_NS4plusIfEEEE10hipError_tPvRmT1_T2_T3_mT4_P12ihipStream_tbEUlT_E0_NS1_11comp_targetILNS1_3genE0ELNS1_11target_archE4294967295ELNS1_3gpuE0ELNS1_3repE0EEENS1_30default_config_static_selectorELNS0_4arch9wavefront6targetE0EEEvSF_.numbered_sgpr, 0
	.set _ZN7rocprim17ROCPRIM_400000_NS6detail17trampoline_kernelINS0_14default_configENS1_22reduce_config_selectorIfEEZNS1_11reduce_implILb1ES3_PfS7_fN6thrust23THRUST_200600_302600_NS4plusIfEEEE10hipError_tPvRmT1_T2_T3_mT4_P12ihipStream_tbEUlT_E0_NS1_11comp_targetILNS1_3genE0ELNS1_11target_archE4294967295ELNS1_3gpuE0ELNS1_3repE0EEENS1_30default_config_static_selectorELNS0_4arch9wavefront6targetE0EEEvSF_.num_named_barrier, 0
	.set _ZN7rocprim17ROCPRIM_400000_NS6detail17trampoline_kernelINS0_14default_configENS1_22reduce_config_selectorIfEEZNS1_11reduce_implILb1ES3_PfS7_fN6thrust23THRUST_200600_302600_NS4plusIfEEEE10hipError_tPvRmT1_T2_T3_mT4_P12ihipStream_tbEUlT_E0_NS1_11comp_targetILNS1_3genE0ELNS1_11target_archE4294967295ELNS1_3gpuE0ELNS1_3repE0EEENS1_30default_config_static_selectorELNS0_4arch9wavefront6targetE0EEEvSF_.private_seg_size, 0
	.set _ZN7rocprim17ROCPRIM_400000_NS6detail17trampoline_kernelINS0_14default_configENS1_22reduce_config_selectorIfEEZNS1_11reduce_implILb1ES3_PfS7_fN6thrust23THRUST_200600_302600_NS4plusIfEEEE10hipError_tPvRmT1_T2_T3_mT4_P12ihipStream_tbEUlT_E0_NS1_11comp_targetILNS1_3genE0ELNS1_11target_archE4294967295ELNS1_3gpuE0ELNS1_3repE0EEENS1_30default_config_static_selectorELNS0_4arch9wavefront6targetE0EEEvSF_.uses_vcc, 0
	.set _ZN7rocprim17ROCPRIM_400000_NS6detail17trampoline_kernelINS0_14default_configENS1_22reduce_config_selectorIfEEZNS1_11reduce_implILb1ES3_PfS7_fN6thrust23THRUST_200600_302600_NS4plusIfEEEE10hipError_tPvRmT1_T2_T3_mT4_P12ihipStream_tbEUlT_E0_NS1_11comp_targetILNS1_3genE0ELNS1_11target_archE4294967295ELNS1_3gpuE0ELNS1_3repE0EEENS1_30default_config_static_selectorELNS0_4arch9wavefront6targetE0EEEvSF_.uses_flat_scratch, 0
	.set _ZN7rocprim17ROCPRIM_400000_NS6detail17trampoline_kernelINS0_14default_configENS1_22reduce_config_selectorIfEEZNS1_11reduce_implILb1ES3_PfS7_fN6thrust23THRUST_200600_302600_NS4plusIfEEEE10hipError_tPvRmT1_T2_T3_mT4_P12ihipStream_tbEUlT_E0_NS1_11comp_targetILNS1_3genE0ELNS1_11target_archE4294967295ELNS1_3gpuE0ELNS1_3repE0EEENS1_30default_config_static_selectorELNS0_4arch9wavefront6targetE0EEEvSF_.has_dyn_sized_stack, 0
	.set _ZN7rocprim17ROCPRIM_400000_NS6detail17trampoline_kernelINS0_14default_configENS1_22reduce_config_selectorIfEEZNS1_11reduce_implILb1ES3_PfS7_fN6thrust23THRUST_200600_302600_NS4plusIfEEEE10hipError_tPvRmT1_T2_T3_mT4_P12ihipStream_tbEUlT_E0_NS1_11comp_targetILNS1_3genE0ELNS1_11target_archE4294967295ELNS1_3gpuE0ELNS1_3repE0EEENS1_30default_config_static_selectorELNS0_4arch9wavefront6targetE0EEEvSF_.has_recursion, 0
	.set _ZN7rocprim17ROCPRIM_400000_NS6detail17trampoline_kernelINS0_14default_configENS1_22reduce_config_selectorIfEEZNS1_11reduce_implILb1ES3_PfS7_fN6thrust23THRUST_200600_302600_NS4plusIfEEEE10hipError_tPvRmT1_T2_T3_mT4_P12ihipStream_tbEUlT_E0_NS1_11comp_targetILNS1_3genE0ELNS1_11target_archE4294967295ELNS1_3gpuE0ELNS1_3repE0EEENS1_30default_config_static_selectorELNS0_4arch9wavefront6targetE0EEEvSF_.has_indirect_call, 0
	.section	.AMDGPU.csdata,"",@progbits
; Kernel info:
; codeLenInByte = 0
; TotalNumSgprs: 0
; NumVgprs: 0
; ScratchSize: 0
; MemoryBound: 0
; FloatMode: 240
; IeeeMode: 1
; LDSByteSize: 0 bytes/workgroup (compile time only)
; SGPRBlocks: 0
; VGPRBlocks: 0
; NumSGPRsForWavesPerEU: 1
; NumVGPRsForWavesPerEU: 1
; Occupancy: 16
; WaveLimiterHint : 0
; COMPUTE_PGM_RSRC2:SCRATCH_EN: 0
; COMPUTE_PGM_RSRC2:USER_SGPR: 6
; COMPUTE_PGM_RSRC2:TRAP_HANDLER: 0
; COMPUTE_PGM_RSRC2:TGID_X_EN: 1
; COMPUTE_PGM_RSRC2:TGID_Y_EN: 0
; COMPUTE_PGM_RSRC2:TGID_Z_EN: 0
; COMPUTE_PGM_RSRC2:TIDIG_COMP_CNT: 0
	.section	.text._ZN7rocprim17ROCPRIM_400000_NS6detail17trampoline_kernelINS0_14default_configENS1_22reduce_config_selectorIfEEZNS1_11reduce_implILb1ES3_PfS7_fN6thrust23THRUST_200600_302600_NS4plusIfEEEE10hipError_tPvRmT1_T2_T3_mT4_P12ihipStream_tbEUlT_E0_NS1_11comp_targetILNS1_3genE5ELNS1_11target_archE942ELNS1_3gpuE9ELNS1_3repE0EEENS1_30default_config_static_selectorELNS0_4arch9wavefront6targetE0EEEvSF_,"axG",@progbits,_ZN7rocprim17ROCPRIM_400000_NS6detail17trampoline_kernelINS0_14default_configENS1_22reduce_config_selectorIfEEZNS1_11reduce_implILb1ES3_PfS7_fN6thrust23THRUST_200600_302600_NS4plusIfEEEE10hipError_tPvRmT1_T2_T3_mT4_P12ihipStream_tbEUlT_E0_NS1_11comp_targetILNS1_3genE5ELNS1_11target_archE942ELNS1_3gpuE9ELNS1_3repE0EEENS1_30default_config_static_selectorELNS0_4arch9wavefront6targetE0EEEvSF_,comdat
	.protected	_ZN7rocprim17ROCPRIM_400000_NS6detail17trampoline_kernelINS0_14default_configENS1_22reduce_config_selectorIfEEZNS1_11reduce_implILb1ES3_PfS7_fN6thrust23THRUST_200600_302600_NS4plusIfEEEE10hipError_tPvRmT1_T2_T3_mT4_P12ihipStream_tbEUlT_E0_NS1_11comp_targetILNS1_3genE5ELNS1_11target_archE942ELNS1_3gpuE9ELNS1_3repE0EEENS1_30default_config_static_selectorELNS0_4arch9wavefront6targetE0EEEvSF_ ; -- Begin function _ZN7rocprim17ROCPRIM_400000_NS6detail17trampoline_kernelINS0_14default_configENS1_22reduce_config_selectorIfEEZNS1_11reduce_implILb1ES3_PfS7_fN6thrust23THRUST_200600_302600_NS4plusIfEEEE10hipError_tPvRmT1_T2_T3_mT4_P12ihipStream_tbEUlT_E0_NS1_11comp_targetILNS1_3genE5ELNS1_11target_archE942ELNS1_3gpuE9ELNS1_3repE0EEENS1_30default_config_static_selectorELNS0_4arch9wavefront6targetE0EEEvSF_
	.globl	_ZN7rocprim17ROCPRIM_400000_NS6detail17trampoline_kernelINS0_14default_configENS1_22reduce_config_selectorIfEEZNS1_11reduce_implILb1ES3_PfS7_fN6thrust23THRUST_200600_302600_NS4plusIfEEEE10hipError_tPvRmT1_T2_T3_mT4_P12ihipStream_tbEUlT_E0_NS1_11comp_targetILNS1_3genE5ELNS1_11target_archE942ELNS1_3gpuE9ELNS1_3repE0EEENS1_30default_config_static_selectorELNS0_4arch9wavefront6targetE0EEEvSF_
	.p2align	8
	.type	_ZN7rocprim17ROCPRIM_400000_NS6detail17trampoline_kernelINS0_14default_configENS1_22reduce_config_selectorIfEEZNS1_11reduce_implILb1ES3_PfS7_fN6thrust23THRUST_200600_302600_NS4plusIfEEEE10hipError_tPvRmT1_T2_T3_mT4_P12ihipStream_tbEUlT_E0_NS1_11comp_targetILNS1_3genE5ELNS1_11target_archE942ELNS1_3gpuE9ELNS1_3repE0EEENS1_30default_config_static_selectorELNS0_4arch9wavefront6targetE0EEEvSF_,@function
_ZN7rocprim17ROCPRIM_400000_NS6detail17trampoline_kernelINS0_14default_configENS1_22reduce_config_selectorIfEEZNS1_11reduce_implILb1ES3_PfS7_fN6thrust23THRUST_200600_302600_NS4plusIfEEEE10hipError_tPvRmT1_T2_T3_mT4_P12ihipStream_tbEUlT_E0_NS1_11comp_targetILNS1_3genE5ELNS1_11target_archE942ELNS1_3gpuE9ELNS1_3repE0EEENS1_30default_config_static_selectorELNS0_4arch9wavefront6targetE0EEEvSF_: ; @_ZN7rocprim17ROCPRIM_400000_NS6detail17trampoline_kernelINS0_14default_configENS1_22reduce_config_selectorIfEEZNS1_11reduce_implILb1ES3_PfS7_fN6thrust23THRUST_200600_302600_NS4plusIfEEEE10hipError_tPvRmT1_T2_T3_mT4_P12ihipStream_tbEUlT_E0_NS1_11comp_targetILNS1_3genE5ELNS1_11target_archE942ELNS1_3gpuE9ELNS1_3repE0EEENS1_30default_config_static_selectorELNS0_4arch9wavefront6targetE0EEEvSF_
; %bb.0:
	.section	.rodata,"a",@progbits
	.p2align	6, 0x0
	.amdhsa_kernel _ZN7rocprim17ROCPRIM_400000_NS6detail17trampoline_kernelINS0_14default_configENS1_22reduce_config_selectorIfEEZNS1_11reduce_implILb1ES3_PfS7_fN6thrust23THRUST_200600_302600_NS4plusIfEEEE10hipError_tPvRmT1_T2_T3_mT4_P12ihipStream_tbEUlT_E0_NS1_11comp_targetILNS1_3genE5ELNS1_11target_archE942ELNS1_3gpuE9ELNS1_3repE0EEENS1_30default_config_static_selectorELNS0_4arch9wavefront6targetE0EEEvSF_
		.amdhsa_group_segment_fixed_size 0
		.amdhsa_private_segment_fixed_size 0
		.amdhsa_kernarg_size 56
		.amdhsa_user_sgpr_count 6
		.amdhsa_user_sgpr_private_segment_buffer 1
		.amdhsa_user_sgpr_dispatch_ptr 0
		.amdhsa_user_sgpr_queue_ptr 0
		.amdhsa_user_sgpr_kernarg_segment_ptr 1
		.amdhsa_user_sgpr_dispatch_id 0
		.amdhsa_user_sgpr_flat_scratch_init 0
		.amdhsa_user_sgpr_private_segment_size 0
		.amdhsa_wavefront_size32 1
		.amdhsa_uses_dynamic_stack 0
		.amdhsa_system_sgpr_private_segment_wavefront_offset 0
		.amdhsa_system_sgpr_workgroup_id_x 1
		.amdhsa_system_sgpr_workgroup_id_y 0
		.amdhsa_system_sgpr_workgroup_id_z 0
		.amdhsa_system_sgpr_workgroup_info 0
		.amdhsa_system_vgpr_workitem_id 0
		.amdhsa_next_free_vgpr 1
		.amdhsa_next_free_sgpr 1
		.amdhsa_reserve_vcc 0
		.amdhsa_reserve_flat_scratch 0
		.amdhsa_float_round_mode_32 0
		.amdhsa_float_round_mode_16_64 0
		.amdhsa_float_denorm_mode_32 3
		.amdhsa_float_denorm_mode_16_64 3
		.amdhsa_dx10_clamp 1
		.amdhsa_ieee_mode 1
		.amdhsa_fp16_overflow 0
		.amdhsa_workgroup_processor_mode 1
		.amdhsa_memory_ordered 1
		.amdhsa_forward_progress 1
		.amdhsa_shared_vgpr_count 0
		.amdhsa_exception_fp_ieee_invalid_op 0
		.amdhsa_exception_fp_denorm_src 0
		.amdhsa_exception_fp_ieee_div_zero 0
		.amdhsa_exception_fp_ieee_overflow 0
		.amdhsa_exception_fp_ieee_underflow 0
		.amdhsa_exception_fp_ieee_inexact 0
		.amdhsa_exception_int_div_zero 0
	.end_amdhsa_kernel
	.section	.text._ZN7rocprim17ROCPRIM_400000_NS6detail17trampoline_kernelINS0_14default_configENS1_22reduce_config_selectorIfEEZNS1_11reduce_implILb1ES3_PfS7_fN6thrust23THRUST_200600_302600_NS4plusIfEEEE10hipError_tPvRmT1_T2_T3_mT4_P12ihipStream_tbEUlT_E0_NS1_11comp_targetILNS1_3genE5ELNS1_11target_archE942ELNS1_3gpuE9ELNS1_3repE0EEENS1_30default_config_static_selectorELNS0_4arch9wavefront6targetE0EEEvSF_,"axG",@progbits,_ZN7rocprim17ROCPRIM_400000_NS6detail17trampoline_kernelINS0_14default_configENS1_22reduce_config_selectorIfEEZNS1_11reduce_implILb1ES3_PfS7_fN6thrust23THRUST_200600_302600_NS4plusIfEEEE10hipError_tPvRmT1_T2_T3_mT4_P12ihipStream_tbEUlT_E0_NS1_11comp_targetILNS1_3genE5ELNS1_11target_archE942ELNS1_3gpuE9ELNS1_3repE0EEENS1_30default_config_static_selectorELNS0_4arch9wavefront6targetE0EEEvSF_,comdat
.Lfunc_end1:
	.size	_ZN7rocprim17ROCPRIM_400000_NS6detail17trampoline_kernelINS0_14default_configENS1_22reduce_config_selectorIfEEZNS1_11reduce_implILb1ES3_PfS7_fN6thrust23THRUST_200600_302600_NS4plusIfEEEE10hipError_tPvRmT1_T2_T3_mT4_P12ihipStream_tbEUlT_E0_NS1_11comp_targetILNS1_3genE5ELNS1_11target_archE942ELNS1_3gpuE9ELNS1_3repE0EEENS1_30default_config_static_selectorELNS0_4arch9wavefront6targetE0EEEvSF_, .Lfunc_end1-_ZN7rocprim17ROCPRIM_400000_NS6detail17trampoline_kernelINS0_14default_configENS1_22reduce_config_selectorIfEEZNS1_11reduce_implILb1ES3_PfS7_fN6thrust23THRUST_200600_302600_NS4plusIfEEEE10hipError_tPvRmT1_T2_T3_mT4_P12ihipStream_tbEUlT_E0_NS1_11comp_targetILNS1_3genE5ELNS1_11target_archE942ELNS1_3gpuE9ELNS1_3repE0EEENS1_30default_config_static_selectorELNS0_4arch9wavefront6targetE0EEEvSF_
                                        ; -- End function
	.set _ZN7rocprim17ROCPRIM_400000_NS6detail17trampoline_kernelINS0_14default_configENS1_22reduce_config_selectorIfEEZNS1_11reduce_implILb1ES3_PfS7_fN6thrust23THRUST_200600_302600_NS4plusIfEEEE10hipError_tPvRmT1_T2_T3_mT4_P12ihipStream_tbEUlT_E0_NS1_11comp_targetILNS1_3genE5ELNS1_11target_archE942ELNS1_3gpuE9ELNS1_3repE0EEENS1_30default_config_static_selectorELNS0_4arch9wavefront6targetE0EEEvSF_.num_vgpr, 0
	.set _ZN7rocprim17ROCPRIM_400000_NS6detail17trampoline_kernelINS0_14default_configENS1_22reduce_config_selectorIfEEZNS1_11reduce_implILb1ES3_PfS7_fN6thrust23THRUST_200600_302600_NS4plusIfEEEE10hipError_tPvRmT1_T2_T3_mT4_P12ihipStream_tbEUlT_E0_NS1_11comp_targetILNS1_3genE5ELNS1_11target_archE942ELNS1_3gpuE9ELNS1_3repE0EEENS1_30default_config_static_selectorELNS0_4arch9wavefront6targetE0EEEvSF_.num_agpr, 0
	.set _ZN7rocprim17ROCPRIM_400000_NS6detail17trampoline_kernelINS0_14default_configENS1_22reduce_config_selectorIfEEZNS1_11reduce_implILb1ES3_PfS7_fN6thrust23THRUST_200600_302600_NS4plusIfEEEE10hipError_tPvRmT1_T2_T3_mT4_P12ihipStream_tbEUlT_E0_NS1_11comp_targetILNS1_3genE5ELNS1_11target_archE942ELNS1_3gpuE9ELNS1_3repE0EEENS1_30default_config_static_selectorELNS0_4arch9wavefront6targetE0EEEvSF_.numbered_sgpr, 0
	.set _ZN7rocprim17ROCPRIM_400000_NS6detail17trampoline_kernelINS0_14default_configENS1_22reduce_config_selectorIfEEZNS1_11reduce_implILb1ES3_PfS7_fN6thrust23THRUST_200600_302600_NS4plusIfEEEE10hipError_tPvRmT1_T2_T3_mT4_P12ihipStream_tbEUlT_E0_NS1_11comp_targetILNS1_3genE5ELNS1_11target_archE942ELNS1_3gpuE9ELNS1_3repE0EEENS1_30default_config_static_selectorELNS0_4arch9wavefront6targetE0EEEvSF_.num_named_barrier, 0
	.set _ZN7rocprim17ROCPRIM_400000_NS6detail17trampoline_kernelINS0_14default_configENS1_22reduce_config_selectorIfEEZNS1_11reduce_implILb1ES3_PfS7_fN6thrust23THRUST_200600_302600_NS4plusIfEEEE10hipError_tPvRmT1_T2_T3_mT4_P12ihipStream_tbEUlT_E0_NS1_11comp_targetILNS1_3genE5ELNS1_11target_archE942ELNS1_3gpuE9ELNS1_3repE0EEENS1_30default_config_static_selectorELNS0_4arch9wavefront6targetE0EEEvSF_.private_seg_size, 0
	.set _ZN7rocprim17ROCPRIM_400000_NS6detail17trampoline_kernelINS0_14default_configENS1_22reduce_config_selectorIfEEZNS1_11reduce_implILb1ES3_PfS7_fN6thrust23THRUST_200600_302600_NS4plusIfEEEE10hipError_tPvRmT1_T2_T3_mT4_P12ihipStream_tbEUlT_E0_NS1_11comp_targetILNS1_3genE5ELNS1_11target_archE942ELNS1_3gpuE9ELNS1_3repE0EEENS1_30default_config_static_selectorELNS0_4arch9wavefront6targetE0EEEvSF_.uses_vcc, 0
	.set _ZN7rocprim17ROCPRIM_400000_NS6detail17trampoline_kernelINS0_14default_configENS1_22reduce_config_selectorIfEEZNS1_11reduce_implILb1ES3_PfS7_fN6thrust23THRUST_200600_302600_NS4plusIfEEEE10hipError_tPvRmT1_T2_T3_mT4_P12ihipStream_tbEUlT_E0_NS1_11comp_targetILNS1_3genE5ELNS1_11target_archE942ELNS1_3gpuE9ELNS1_3repE0EEENS1_30default_config_static_selectorELNS0_4arch9wavefront6targetE0EEEvSF_.uses_flat_scratch, 0
	.set _ZN7rocprim17ROCPRIM_400000_NS6detail17trampoline_kernelINS0_14default_configENS1_22reduce_config_selectorIfEEZNS1_11reduce_implILb1ES3_PfS7_fN6thrust23THRUST_200600_302600_NS4plusIfEEEE10hipError_tPvRmT1_T2_T3_mT4_P12ihipStream_tbEUlT_E0_NS1_11comp_targetILNS1_3genE5ELNS1_11target_archE942ELNS1_3gpuE9ELNS1_3repE0EEENS1_30default_config_static_selectorELNS0_4arch9wavefront6targetE0EEEvSF_.has_dyn_sized_stack, 0
	.set _ZN7rocprim17ROCPRIM_400000_NS6detail17trampoline_kernelINS0_14default_configENS1_22reduce_config_selectorIfEEZNS1_11reduce_implILb1ES3_PfS7_fN6thrust23THRUST_200600_302600_NS4plusIfEEEE10hipError_tPvRmT1_T2_T3_mT4_P12ihipStream_tbEUlT_E0_NS1_11comp_targetILNS1_3genE5ELNS1_11target_archE942ELNS1_3gpuE9ELNS1_3repE0EEENS1_30default_config_static_selectorELNS0_4arch9wavefront6targetE0EEEvSF_.has_recursion, 0
	.set _ZN7rocprim17ROCPRIM_400000_NS6detail17trampoline_kernelINS0_14default_configENS1_22reduce_config_selectorIfEEZNS1_11reduce_implILb1ES3_PfS7_fN6thrust23THRUST_200600_302600_NS4plusIfEEEE10hipError_tPvRmT1_T2_T3_mT4_P12ihipStream_tbEUlT_E0_NS1_11comp_targetILNS1_3genE5ELNS1_11target_archE942ELNS1_3gpuE9ELNS1_3repE0EEENS1_30default_config_static_selectorELNS0_4arch9wavefront6targetE0EEEvSF_.has_indirect_call, 0
	.section	.AMDGPU.csdata,"",@progbits
; Kernel info:
; codeLenInByte = 0
; TotalNumSgprs: 0
; NumVgprs: 0
; ScratchSize: 0
; MemoryBound: 0
; FloatMode: 240
; IeeeMode: 1
; LDSByteSize: 0 bytes/workgroup (compile time only)
; SGPRBlocks: 0
; VGPRBlocks: 0
; NumSGPRsForWavesPerEU: 1
; NumVGPRsForWavesPerEU: 1
; Occupancy: 16
; WaveLimiterHint : 0
; COMPUTE_PGM_RSRC2:SCRATCH_EN: 0
; COMPUTE_PGM_RSRC2:USER_SGPR: 6
; COMPUTE_PGM_RSRC2:TRAP_HANDLER: 0
; COMPUTE_PGM_RSRC2:TGID_X_EN: 1
; COMPUTE_PGM_RSRC2:TGID_Y_EN: 0
; COMPUTE_PGM_RSRC2:TGID_Z_EN: 0
; COMPUTE_PGM_RSRC2:TIDIG_COMP_CNT: 0
	.section	.text._ZN7rocprim17ROCPRIM_400000_NS6detail17trampoline_kernelINS0_14default_configENS1_22reduce_config_selectorIfEEZNS1_11reduce_implILb1ES3_PfS7_fN6thrust23THRUST_200600_302600_NS4plusIfEEEE10hipError_tPvRmT1_T2_T3_mT4_P12ihipStream_tbEUlT_E0_NS1_11comp_targetILNS1_3genE4ELNS1_11target_archE910ELNS1_3gpuE8ELNS1_3repE0EEENS1_30default_config_static_selectorELNS0_4arch9wavefront6targetE0EEEvSF_,"axG",@progbits,_ZN7rocprim17ROCPRIM_400000_NS6detail17trampoline_kernelINS0_14default_configENS1_22reduce_config_selectorIfEEZNS1_11reduce_implILb1ES3_PfS7_fN6thrust23THRUST_200600_302600_NS4plusIfEEEE10hipError_tPvRmT1_T2_T3_mT4_P12ihipStream_tbEUlT_E0_NS1_11comp_targetILNS1_3genE4ELNS1_11target_archE910ELNS1_3gpuE8ELNS1_3repE0EEENS1_30default_config_static_selectorELNS0_4arch9wavefront6targetE0EEEvSF_,comdat
	.protected	_ZN7rocprim17ROCPRIM_400000_NS6detail17trampoline_kernelINS0_14default_configENS1_22reduce_config_selectorIfEEZNS1_11reduce_implILb1ES3_PfS7_fN6thrust23THRUST_200600_302600_NS4plusIfEEEE10hipError_tPvRmT1_T2_T3_mT4_P12ihipStream_tbEUlT_E0_NS1_11comp_targetILNS1_3genE4ELNS1_11target_archE910ELNS1_3gpuE8ELNS1_3repE0EEENS1_30default_config_static_selectorELNS0_4arch9wavefront6targetE0EEEvSF_ ; -- Begin function _ZN7rocprim17ROCPRIM_400000_NS6detail17trampoline_kernelINS0_14default_configENS1_22reduce_config_selectorIfEEZNS1_11reduce_implILb1ES3_PfS7_fN6thrust23THRUST_200600_302600_NS4plusIfEEEE10hipError_tPvRmT1_T2_T3_mT4_P12ihipStream_tbEUlT_E0_NS1_11comp_targetILNS1_3genE4ELNS1_11target_archE910ELNS1_3gpuE8ELNS1_3repE0EEENS1_30default_config_static_selectorELNS0_4arch9wavefront6targetE0EEEvSF_
	.globl	_ZN7rocprim17ROCPRIM_400000_NS6detail17trampoline_kernelINS0_14default_configENS1_22reduce_config_selectorIfEEZNS1_11reduce_implILb1ES3_PfS7_fN6thrust23THRUST_200600_302600_NS4plusIfEEEE10hipError_tPvRmT1_T2_T3_mT4_P12ihipStream_tbEUlT_E0_NS1_11comp_targetILNS1_3genE4ELNS1_11target_archE910ELNS1_3gpuE8ELNS1_3repE0EEENS1_30default_config_static_selectorELNS0_4arch9wavefront6targetE0EEEvSF_
	.p2align	8
	.type	_ZN7rocprim17ROCPRIM_400000_NS6detail17trampoline_kernelINS0_14default_configENS1_22reduce_config_selectorIfEEZNS1_11reduce_implILb1ES3_PfS7_fN6thrust23THRUST_200600_302600_NS4plusIfEEEE10hipError_tPvRmT1_T2_T3_mT4_P12ihipStream_tbEUlT_E0_NS1_11comp_targetILNS1_3genE4ELNS1_11target_archE910ELNS1_3gpuE8ELNS1_3repE0EEENS1_30default_config_static_selectorELNS0_4arch9wavefront6targetE0EEEvSF_,@function
_ZN7rocprim17ROCPRIM_400000_NS6detail17trampoline_kernelINS0_14default_configENS1_22reduce_config_selectorIfEEZNS1_11reduce_implILb1ES3_PfS7_fN6thrust23THRUST_200600_302600_NS4plusIfEEEE10hipError_tPvRmT1_T2_T3_mT4_P12ihipStream_tbEUlT_E0_NS1_11comp_targetILNS1_3genE4ELNS1_11target_archE910ELNS1_3gpuE8ELNS1_3repE0EEENS1_30default_config_static_selectorELNS0_4arch9wavefront6targetE0EEEvSF_: ; @_ZN7rocprim17ROCPRIM_400000_NS6detail17trampoline_kernelINS0_14default_configENS1_22reduce_config_selectorIfEEZNS1_11reduce_implILb1ES3_PfS7_fN6thrust23THRUST_200600_302600_NS4plusIfEEEE10hipError_tPvRmT1_T2_T3_mT4_P12ihipStream_tbEUlT_E0_NS1_11comp_targetILNS1_3genE4ELNS1_11target_archE910ELNS1_3gpuE8ELNS1_3repE0EEENS1_30default_config_static_selectorELNS0_4arch9wavefront6targetE0EEEvSF_
; %bb.0:
	.section	.rodata,"a",@progbits
	.p2align	6, 0x0
	.amdhsa_kernel _ZN7rocprim17ROCPRIM_400000_NS6detail17trampoline_kernelINS0_14default_configENS1_22reduce_config_selectorIfEEZNS1_11reduce_implILb1ES3_PfS7_fN6thrust23THRUST_200600_302600_NS4plusIfEEEE10hipError_tPvRmT1_T2_T3_mT4_P12ihipStream_tbEUlT_E0_NS1_11comp_targetILNS1_3genE4ELNS1_11target_archE910ELNS1_3gpuE8ELNS1_3repE0EEENS1_30default_config_static_selectorELNS0_4arch9wavefront6targetE0EEEvSF_
		.amdhsa_group_segment_fixed_size 0
		.amdhsa_private_segment_fixed_size 0
		.amdhsa_kernarg_size 56
		.amdhsa_user_sgpr_count 6
		.amdhsa_user_sgpr_private_segment_buffer 1
		.amdhsa_user_sgpr_dispatch_ptr 0
		.amdhsa_user_sgpr_queue_ptr 0
		.amdhsa_user_sgpr_kernarg_segment_ptr 1
		.amdhsa_user_sgpr_dispatch_id 0
		.amdhsa_user_sgpr_flat_scratch_init 0
		.amdhsa_user_sgpr_private_segment_size 0
		.amdhsa_wavefront_size32 1
		.amdhsa_uses_dynamic_stack 0
		.amdhsa_system_sgpr_private_segment_wavefront_offset 0
		.amdhsa_system_sgpr_workgroup_id_x 1
		.amdhsa_system_sgpr_workgroup_id_y 0
		.amdhsa_system_sgpr_workgroup_id_z 0
		.amdhsa_system_sgpr_workgroup_info 0
		.amdhsa_system_vgpr_workitem_id 0
		.amdhsa_next_free_vgpr 1
		.amdhsa_next_free_sgpr 1
		.amdhsa_reserve_vcc 0
		.amdhsa_reserve_flat_scratch 0
		.amdhsa_float_round_mode_32 0
		.amdhsa_float_round_mode_16_64 0
		.amdhsa_float_denorm_mode_32 3
		.amdhsa_float_denorm_mode_16_64 3
		.amdhsa_dx10_clamp 1
		.amdhsa_ieee_mode 1
		.amdhsa_fp16_overflow 0
		.amdhsa_workgroup_processor_mode 1
		.amdhsa_memory_ordered 1
		.amdhsa_forward_progress 1
		.amdhsa_shared_vgpr_count 0
		.amdhsa_exception_fp_ieee_invalid_op 0
		.amdhsa_exception_fp_denorm_src 0
		.amdhsa_exception_fp_ieee_div_zero 0
		.amdhsa_exception_fp_ieee_overflow 0
		.amdhsa_exception_fp_ieee_underflow 0
		.amdhsa_exception_fp_ieee_inexact 0
		.amdhsa_exception_int_div_zero 0
	.end_amdhsa_kernel
	.section	.text._ZN7rocprim17ROCPRIM_400000_NS6detail17trampoline_kernelINS0_14default_configENS1_22reduce_config_selectorIfEEZNS1_11reduce_implILb1ES3_PfS7_fN6thrust23THRUST_200600_302600_NS4plusIfEEEE10hipError_tPvRmT1_T2_T3_mT4_P12ihipStream_tbEUlT_E0_NS1_11comp_targetILNS1_3genE4ELNS1_11target_archE910ELNS1_3gpuE8ELNS1_3repE0EEENS1_30default_config_static_selectorELNS0_4arch9wavefront6targetE0EEEvSF_,"axG",@progbits,_ZN7rocprim17ROCPRIM_400000_NS6detail17trampoline_kernelINS0_14default_configENS1_22reduce_config_selectorIfEEZNS1_11reduce_implILb1ES3_PfS7_fN6thrust23THRUST_200600_302600_NS4plusIfEEEE10hipError_tPvRmT1_T2_T3_mT4_P12ihipStream_tbEUlT_E0_NS1_11comp_targetILNS1_3genE4ELNS1_11target_archE910ELNS1_3gpuE8ELNS1_3repE0EEENS1_30default_config_static_selectorELNS0_4arch9wavefront6targetE0EEEvSF_,comdat
.Lfunc_end2:
	.size	_ZN7rocprim17ROCPRIM_400000_NS6detail17trampoline_kernelINS0_14default_configENS1_22reduce_config_selectorIfEEZNS1_11reduce_implILb1ES3_PfS7_fN6thrust23THRUST_200600_302600_NS4plusIfEEEE10hipError_tPvRmT1_T2_T3_mT4_P12ihipStream_tbEUlT_E0_NS1_11comp_targetILNS1_3genE4ELNS1_11target_archE910ELNS1_3gpuE8ELNS1_3repE0EEENS1_30default_config_static_selectorELNS0_4arch9wavefront6targetE0EEEvSF_, .Lfunc_end2-_ZN7rocprim17ROCPRIM_400000_NS6detail17trampoline_kernelINS0_14default_configENS1_22reduce_config_selectorIfEEZNS1_11reduce_implILb1ES3_PfS7_fN6thrust23THRUST_200600_302600_NS4plusIfEEEE10hipError_tPvRmT1_T2_T3_mT4_P12ihipStream_tbEUlT_E0_NS1_11comp_targetILNS1_3genE4ELNS1_11target_archE910ELNS1_3gpuE8ELNS1_3repE0EEENS1_30default_config_static_selectorELNS0_4arch9wavefront6targetE0EEEvSF_
                                        ; -- End function
	.set _ZN7rocprim17ROCPRIM_400000_NS6detail17trampoline_kernelINS0_14default_configENS1_22reduce_config_selectorIfEEZNS1_11reduce_implILb1ES3_PfS7_fN6thrust23THRUST_200600_302600_NS4plusIfEEEE10hipError_tPvRmT1_T2_T3_mT4_P12ihipStream_tbEUlT_E0_NS1_11comp_targetILNS1_3genE4ELNS1_11target_archE910ELNS1_3gpuE8ELNS1_3repE0EEENS1_30default_config_static_selectorELNS0_4arch9wavefront6targetE0EEEvSF_.num_vgpr, 0
	.set _ZN7rocprim17ROCPRIM_400000_NS6detail17trampoline_kernelINS0_14default_configENS1_22reduce_config_selectorIfEEZNS1_11reduce_implILb1ES3_PfS7_fN6thrust23THRUST_200600_302600_NS4plusIfEEEE10hipError_tPvRmT1_T2_T3_mT4_P12ihipStream_tbEUlT_E0_NS1_11comp_targetILNS1_3genE4ELNS1_11target_archE910ELNS1_3gpuE8ELNS1_3repE0EEENS1_30default_config_static_selectorELNS0_4arch9wavefront6targetE0EEEvSF_.num_agpr, 0
	.set _ZN7rocprim17ROCPRIM_400000_NS6detail17trampoline_kernelINS0_14default_configENS1_22reduce_config_selectorIfEEZNS1_11reduce_implILb1ES3_PfS7_fN6thrust23THRUST_200600_302600_NS4plusIfEEEE10hipError_tPvRmT1_T2_T3_mT4_P12ihipStream_tbEUlT_E0_NS1_11comp_targetILNS1_3genE4ELNS1_11target_archE910ELNS1_3gpuE8ELNS1_3repE0EEENS1_30default_config_static_selectorELNS0_4arch9wavefront6targetE0EEEvSF_.numbered_sgpr, 0
	.set _ZN7rocprim17ROCPRIM_400000_NS6detail17trampoline_kernelINS0_14default_configENS1_22reduce_config_selectorIfEEZNS1_11reduce_implILb1ES3_PfS7_fN6thrust23THRUST_200600_302600_NS4plusIfEEEE10hipError_tPvRmT1_T2_T3_mT4_P12ihipStream_tbEUlT_E0_NS1_11comp_targetILNS1_3genE4ELNS1_11target_archE910ELNS1_3gpuE8ELNS1_3repE0EEENS1_30default_config_static_selectorELNS0_4arch9wavefront6targetE0EEEvSF_.num_named_barrier, 0
	.set _ZN7rocprim17ROCPRIM_400000_NS6detail17trampoline_kernelINS0_14default_configENS1_22reduce_config_selectorIfEEZNS1_11reduce_implILb1ES3_PfS7_fN6thrust23THRUST_200600_302600_NS4plusIfEEEE10hipError_tPvRmT1_T2_T3_mT4_P12ihipStream_tbEUlT_E0_NS1_11comp_targetILNS1_3genE4ELNS1_11target_archE910ELNS1_3gpuE8ELNS1_3repE0EEENS1_30default_config_static_selectorELNS0_4arch9wavefront6targetE0EEEvSF_.private_seg_size, 0
	.set _ZN7rocprim17ROCPRIM_400000_NS6detail17trampoline_kernelINS0_14default_configENS1_22reduce_config_selectorIfEEZNS1_11reduce_implILb1ES3_PfS7_fN6thrust23THRUST_200600_302600_NS4plusIfEEEE10hipError_tPvRmT1_T2_T3_mT4_P12ihipStream_tbEUlT_E0_NS1_11comp_targetILNS1_3genE4ELNS1_11target_archE910ELNS1_3gpuE8ELNS1_3repE0EEENS1_30default_config_static_selectorELNS0_4arch9wavefront6targetE0EEEvSF_.uses_vcc, 0
	.set _ZN7rocprim17ROCPRIM_400000_NS6detail17trampoline_kernelINS0_14default_configENS1_22reduce_config_selectorIfEEZNS1_11reduce_implILb1ES3_PfS7_fN6thrust23THRUST_200600_302600_NS4plusIfEEEE10hipError_tPvRmT1_T2_T3_mT4_P12ihipStream_tbEUlT_E0_NS1_11comp_targetILNS1_3genE4ELNS1_11target_archE910ELNS1_3gpuE8ELNS1_3repE0EEENS1_30default_config_static_selectorELNS0_4arch9wavefront6targetE0EEEvSF_.uses_flat_scratch, 0
	.set _ZN7rocprim17ROCPRIM_400000_NS6detail17trampoline_kernelINS0_14default_configENS1_22reduce_config_selectorIfEEZNS1_11reduce_implILb1ES3_PfS7_fN6thrust23THRUST_200600_302600_NS4plusIfEEEE10hipError_tPvRmT1_T2_T3_mT4_P12ihipStream_tbEUlT_E0_NS1_11comp_targetILNS1_3genE4ELNS1_11target_archE910ELNS1_3gpuE8ELNS1_3repE0EEENS1_30default_config_static_selectorELNS0_4arch9wavefront6targetE0EEEvSF_.has_dyn_sized_stack, 0
	.set _ZN7rocprim17ROCPRIM_400000_NS6detail17trampoline_kernelINS0_14default_configENS1_22reduce_config_selectorIfEEZNS1_11reduce_implILb1ES3_PfS7_fN6thrust23THRUST_200600_302600_NS4plusIfEEEE10hipError_tPvRmT1_T2_T3_mT4_P12ihipStream_tbEUlT_E0_NS1_11comp_targetILNS1_3genE4ELNS1_11target_archE910ELNS1_3gpuE8ELNS1_3repE0EEENS1_30default_config_static_selectorELNS0_4arch9wavefront6targetE0EEEvSF_.has_recursion, 0
	.set _ZN7rocprim17ROCPRIM_400000_NS6detail17trampoline_kernelINS0_14default_configENS1_22reduce_config_selectorIfEEZNS1_11reduce_implILb1ES3_PfS7_fN6thrust23THRUST_200600_302600_NS4plusIfEEEE10hipError_tPvRmT1_T2_T3_mT4_P12ihipStream_tbEUlT_E0_NS1_11comp_targetILNS1_3genE4ELNS1_11target_archE910ELNS1_3gpuE8ELNS1_3repE0EEENS1_30default_config_static_selectorELNS0_4arch9wavefront6targetE0EEEvSF_.has_indirect_call, 0
	.section	.AMDGPU.csdata,"",@progbits
; Kernel info:
; codeLenInByte = 0
; TotalNumSgprs: 0
; NumVgprs: 0
; ScratchSize: 0
; MemoryBound: 0
; FloatMode: 240
; IeeeMode: 1
; LDSByteSize: 0 bytes/workgroup (compile time only)
; SGPRBlocks: 0
; VGPRBlocks: 0
; NumSGPRsForWavesPerEU: 1
; NumVGPRsForWavesPerEU: 1
; Occupancy: 16
; WaveLimiterHint : 0
; COMPUTE_PGM_RSRC2:SCRATCH_EN: 0
; COMPUTE_PGM_RSRC2:USER_SGPR: 6
; COMPUTE_PGM_RSRC2:TRAP_HANDLER: 0
; COMPUTE_PGM_RSRC2:TGID_X_EN: 1
; COMPUTE_PGM_RSRC2:TGID_Y_EN: 0
; COMPUTE_PGM_RSRC2:TGID_Z_EN: 0
; COMPUTE_PGM_RSRC2:TIDIG_COMP_CNT: 0
	.section	.text._ZN7rocprim17ROCPRIM_400000_NS6detail17trampoline_kernelINS0_14default_configENS1_22reduce_config_selectorIfEEZNS1_11reduce_implILb1ES3_PfS7_fN6thrust23THRUST_200600_302600_NS4plusIfEEEE10hipError_tPvRmT1_T2_T3_mT4_P12ihipStream_tbEUlT_E0_NS1_11comp_targetILNS1_3genE3ELNS1_11target_archE908ELNS1_3gpuE7ELNS1_3repE0EEENS1_30default_config_static_selectorELNS0_4arch9wavefront6targetE0EEEvSF_,"axG",@progbits,_ZN7rocprim17ROCPRIM_400000_NS6detail17trampoline_kernelINS0_14default_configENS1_22reduce_config_selectorIfEEZNS1_11reduce_implILb1ES3_PfS7_fN6thrust23THRUST_200600_302600_NS4plusIfEEEE10hipError_tPvRmT1_T2_T3_mT4_P12ihipStream_tbEUlT_E0_NS1_11comp_targetILNS1_3genE3ELNS1_11target_archE908ELNS1_3gpuE7ELNS1_3repE0EEENS1_30default_config_static_selectorELNS0_4arch9wavefront6targetE0EEEvSF_,comdat
	.protected	_ZN7rocprim17ROCPRIM_400000_NS6detail17trampoline_kernelINS0_14default_configENS1_22reduce_config_selectorIfEEZNS1_11reduce_implILb1ES3_PfS7_fN6thrust23THRUST_200600_302600_NS4plusIfEEEE10hipError_tPvRmT1_T2_T3_mT4_P12ihipStream_tbEUlT_E0_NS1_11comp_targetILNS1_3genE3ELNS1_11target_archE908ELNS1_3gpuE7ELNS1_3repE0EEENS1_30default_config_static_selectorELNS0_4arch9wavefront6targetE0EEEvSF_ ; -- Begin function _ZN7rocprim17ROCPRIM_400000_NS6detail17trampoline_kernelINS0_14default_configENS1_22reduce_config_selectorIfEEZNS1_11reduce_implILb1ES3_PfS7_fN6thrust23THRUST_200600_302600_NS4plusIfEEEE10hipError_tPvRmT1_T2_T3_mT4_P12ihipStream_tbEUlT_E0_NS1_11comp_targetILNS1_3genE3ELNS1_11target_archE908ELNS1_3gpuE7ELNS1_3repE0EEENS1_30default_config_static_selectorELNS0_4arch9wavefront6targetE0EEEvSF_
	.globl	_ZN7rocprim17ROCPRIM_400000_NS6detail17trampoline_kernelINS0_14default_configENS1_22reduce_config_selectorIfEEZNS1_11reduce_implILb1ES3_PfS7_fN6thrust23THRUST_200600_302600_NS4plusIfEEEE10hipError_tPvRmT1_T2_T3_mT4_P12ihipStream_tbEUlT_E0_NS1_11comp_targetILNS1_3genE3ELNS1_11target_archE908ELNS1_3gpuE7ELNS1_3repE0EEENS1_30default_config_static_selectorELNS0_4arch9wavefront6targetE0EEEvSF_
	.p2align	8
	.type	_ZN7rocprim17ROCPRIM_400000_NS6detail17trampoline_kernelINS0_14default_configENS1_22reduce_config_selectorIfEEZNS1_11reduce_implILb1ES3_PfS7_fN6thrust23THRUST_200600_302600_NS4plusIfEEEE10hipError_tPvRmT1_T2_T3_mT4_P12ihipStream_tbEUlT_E0_NS1_11comp_targetILNS1_3genE3ELNS1_11target_archE908ELNS1_3gpuE7ELNS1_3repE0EEENS1_30default_config_static_selectorELNS0_4arch9wavefront6targetE0EEEvSF_,@function
_ZN7rocprim17ROCPRIM_400000_NS6detail17trampoline_kernelINS0_14default_configENS1_22reduce_config_selectorIfEEZNS1_11reduce_implILb1ES3_PfS7_fN6thrust23THRUST_200600_302600_NS4plusIfEEEE10hipError_tPvRmT1_T2_T3_mT4_P12ihipStream_tbEUlT_E0_NS1_11comp_targetILNS1_3genE3ELNS1_11target_archE908ELNS1_3gpuE7ELNS1_3repE0EEENS1_30default_config_static_selectorELNS0_4arch9wavefront6targetE0EEEvSF_: ; @_ZN7rocprim17ROCPRIM_400000_NS6detail17trampoline_kernelINS0_14default_configENS1_22reduce_config_selectorIfEEZNS1_11reduce_implILb1ES3_PfS7_fN6thrust23THRUST_200600_302600_NS4plusIfEEEE10hipError_tPvRmT1_T2_T3_mT4_P12ihipStream_tbEUlT_E0_NS1_11comp_targetILNS1_3genE3ELNS1_11target_archE908ELNS1_3gpuE7ELNS1_3repE0EEENS1_30default_config_static_selectorELNS0_4arch9wavefront6targetE0EEEvSF_
; %bb.0:
	.section	.rodata,"a",@progbits
	.p2align	6, 0x0
	.amdhsa_kernel _ZN7rocprim17ROCPRIM_400000_NS6detail17trampoline_kernelINS0_14default_configENS1_22reduce_config_selectorIfEEZNS1_11reduce_implILb1ES3_PfS7_fN6thrust23THRUST_200600_302600_NS4plusIfEEEE10hipError_tPvRmT1_T2_T3_mT4_P12ihipStream_tbEUlT_E0_NS1_11comp_targetILNS1_3genE3ELNS1_11target_archE908ELNS1_3gpuE7ELNS1_3repE0EEENS1_30default_config_static_selectorELNS0_4arch9wavefront6targetE0EEEvSF_
		.amdhsa_group_segment_fixed_size 0
		.amdhsa_private_segment_fixed_size 0
		.amdhsa_kernarg_size 56
		.amdhsa_user_sgpr_count 6
		.amdhsa_user_sgpr_private_segment_buffer 1
		.amdhsa_user_sgpr_dispatch_ptr 0
		.amdhsa_user_sgpr_queue_ptr 0
		.amdhsa_user_sgpr_kernarg_segment_ptr 1
		.amdhsa_user_sgpr_dispatch_id 0
		.amdhsa_user_sgpr_flat_scratch_init 0
		.amdhsa_user_sgpr_private_segment_size 0
		.amdhsa_wavefront_size32 1
		.amdhsa_uses_dynamic_stack 0
		.amdhsa_system_sgpr_private_segment_wavefront_offset 0
		.amdhsa_system_sgpr_workgroup_id_x 1
		.amdhsa_system_sgpr_workgroup_id_y 0
		.amdhsa_system_sgpr_workgroup_id_z 0
		.amdhsa_system_sgpr_workgroup_info 0
		.amdhsa_system_vgpr_workitem_id 0
		.amdhsa_next_free_vgpr 1
		.amdhsa_next_free_sgpr 1
		.amdhsa_reserve_vcc 0
		.amdhsa_reserve_flat_scratch 0
		.amdhsa_float_round_mode_32 0
		.amdhsa_float_round_mode_16_64 0
		.amdhsa_float_denorm_mode_32 3
		.amdhsa_float_denorm_mode_16_64 3
		.amdhsa_dx10_clamp 1
		.amdhsa_ieee_mode 1
		.amdhsa_fp16_overflow 0
		.amdhsa_workgroup_processor_mode 1
		.amdhsa_memory_ordered 1
		.amdhsa_forward_progress 1
		.amdhsa_shared_vgpr_count 0
		.amdhsa_exception_fp_ieee_invalid_op 0
		.amdhsa_exception_fp_denorm_src 0
		.amdhsa_exception_fp_ieee_div_zero 0
		.amdhsa_exception_fp_ieee_overflow 0
		.amdhsa_exception_fp_ieee_underflow 0
		.amdhsa_exception_fp_ieee_inexact 0
		.amdhsa_exception_int_div_zero 0
	.end_amdhsa_kernel
	.section	.text._ZN7rocprim17ROCPRIM_400000_NS6detail17trampoline_kernelINS0_14default_configENS1_22reduce_config_selectorIfEEZNS1_11reduce_implILb1ES3_PfS7_fN6thrust23THRUST_200600_302600_NS4plusIfEEEE10hipError_tPvRmT1_T2_T3_mT4_P12ihipStream_tbEUlT_E0_NS1_11comp_targetILNS1_3genE3ELNS1_11target_archE908ELNS1_3gpuE7ELNS1_3repE0EEENS1_30default_config_static_selectorELNS0_4arch9wavefront6targetE0EEEvSF_,"axG",@progbits,_ZN7rocprim17ROCPRIM_400000_NS6detail17trampoline_kernelINS0_14default_configENS1_22reduce_config_selectorIfEEZNS1_11reduce_implILb1ES3_PfS7_fN6thrust23THRUST_200600_302600_NS4plusIfEEEE10hipError_tPvRmT1_T2_T3_mT4_P12ihipStream_tbEUlT_E0_NS1_11comp_targetILNS1_3genE3ELNS1_11target_archE908ELNS1_3gpuE7ELNS1_3repE0EEENS1_30default_config_static_selectorELNS0_4arch9wavefront6targetE0EEEvSF_,comdat
.Lfunc_end3:
	.size	_ZN7rocprim17ROCPRIM_400000_NS6detail17trampoline_kernelINS0_14default_configENS1_22reduce_config_selectorIfEEZNS1_11reduce_implILb1ES3_PfS7_fN6thrust23THRUST_200600_302600_NS4plusIfEEEE10hipError_tPvRmT1_T2_T3_mT4_P12ihipStream_tbEUlT_E0_NS1_11comp_targetILNS1_3genE3ELNS1_11target_archE908ELNS1_3gpuE7ELNS1_3repE0EEENS1_30default_config_static_selectorELNS0_4arch9wavefront6targetE0EEEvSF_, .Lfunc_end3-_ZN7rocprim17ROCPRIM_400000_NS6detail17trampoline_kernelINS0_14default_configENS1_22reduce_config_selectorIfEEZNS1_11reduce_implILb1ES3_PfS7_fN6thrust23THRUST_200600_302600_NS4plusIfEEEE10hipError_tPvRmT1_T2_T3_mT4_P12ihipStream_tbEUlT_E0_NS1_11comp_targetILNS1_3genE3ELNS1_11target_archE908ELNS1_3gpuE7ELNS1_3repE0EEENS1_30default_config_static_selectorELNS0_4arch9wavefront6targetE0EEEvSF_
                                        ; -- End function
	.set _ZN7rocprim17ROCPRIM_400000_NS6detail17trampoline_kernelINS0_14default_configENS1_22reduce_config_selectorIfEEZNS1_11reduce_implILb1ES3_PfS7_fN6thrust23THRUST_200600_302600_NS4plusIfEEEE10hipError_tPvRmT1_T2_T3_mT4_P12ihipStream_tbEUlT_E0_NS1_11comp_targetILNS1_3genE3ELNS1_11target_archE908ELNS1_3gpuE7ELNS1_3repE0EEENS1_30default_config_static_selectorELNS0_4arch9wavefront6targetE0EEEvSF_.num_vgpr, 0
	.set _ZN7rocprim17ROCPRIM_400000_NS6detail17trampoline_kernelINS0_14default_configENS1_22reduce_config_selectorIfEEZNS1_11reduce_implILb1ES3_PfS7_fN6thrust23THRUST_200600_302600_NS4plusIfEEEE10hipError_tPvRmT1_T2_T3_mT4_P12ihipStream_tbEUlT_E0_NS1_11comp_targetILNS1_3genE3ELNS1_11target_archE908ELNS1_3gpuE7ELNS1_3repE0EEENS1_30default_config_static_selectorELNS0_4arch9wavefront6targetE0EEEvSF_.num_agpr, 0
	.set _ZN7rocprim17ROCPRIM_400000_NS6detail17trampoline_kernelINS0_14default_configENS1_22reduce_config_selectorIfEEZNS1_11reduce_implILb1ES3_PfS7_fN6thrust23THRUST_200600_302600_NS4plusIfEEEE10hipError_tPvRmT1_T2_T3_mT4_P12ihipStream_tbEUlT_E0_NS1_11comp_targetILNS1_3genE3ELNS1_11target_archE908ELNS1_3gpuE7ELNS1_3repE0EEENS1_30default_config_static_selectorELNS0_4arch9wavefront6targetE0EEEvSF_.numbered_sgpr, 0
	.set _ZN7rocprim17ROCPRIM_400000_NS6detail17trampoline_kernelINS0_14default_configENS1_22reduce_config_selectorIfEEZNS1_11reduce_implILb1ES3_PfS7_fN6thrust23THRUST_200600_302600_NS4plusIfEEEE10hipError_tPvRmT1_T2_T3_mT4_P12ihipStream_tbEUlT_E0_NS1_11comp_targetILNS1_3genE3ELNS1_11target_archE908ELNS1_3gpuE7ELNS1_3repE0EEENS1_30default_config_static_selectorELNS0_4arch9wavefront6targetE0EEEvSF_.num_named_barrier, 0
	.set _ZN7rocprim17ROCPRIM_400000_NS6detail17trampoline_kernelINS0_14default_configENS1_22reduce_config_selectorIfEEZNS1_11reduce_implILb1ES3_PfS7_fN6thrust23THRUST_200600_302600_NS4plusIfEEEE10hipError_tPvRmT1_T2_T3_mT4_P12ihipStream_tbEUlT_E0_NS1_11comp_targetILNS1_3genE3ELNS1_11target_archE908ELNS1_3gpuE7ELNS1_3repE0EEENS1_30default_config_static_selectorELNS0_4arch9wavefront6targetE0EEEvSF_.private_seg_size, 0
	.set _ZN7rocprim17ROCPRIM_400000_NS6detail17trampoline_kernelINS0_14default_configENS1_22reduce_config_selectorIfEEZNS1_11reduce_implILb1ES3_PfS7_fN6thrust23THRUST_200600_302600_NS4plusIfEEEE10hipError_tPvRmT1_T2_T3_mT4_P12ihipStream_tbEUlT_E0_NS1_11comp_targetILNS1_3genE3ELNS1_11target_archE908ELNS1_3gpuE7ELNS1_3repE0EEENS1_30default_config_static_selectorELNS0_4arch9wavefront6targetE0EEEvSF_.uses_vcc, 0
	.set _ZN7rocprim17ROCPRIM_400000_NS6detail17trampoline_kernelINS0_14default_configENS1_22reduce_config_selectorIfEEZNS1_11reduce_implILb1ES3_PfS7_fN6thrust23THRUST_200600_302600_NS4plusIfEEEE10hipError_tPvRmT1_T2_T3_mT4_P12ihipStream_tbEUlT_E0_NS1_11comp_targetILNS1_3genE3ELNS1_11target_archE908ELNS1_3gpuE7ELNS1_3repE0EEENS1_30default_config_static_selectorELNS0_4arch9wavefront6targetE0EEEvSF_.uses_flat_scratch, 0
	.set _ZN7rocprim17ROCPRIM_400000_NS6detail17trampoline_kernelINS0_14default_configENS1_22reduce_config_selectorIfEEZNS1_11reduce_implILb1ES3_PfS7_fN6thrust23THRUST_200600_302600_NS4plusIfEEEE10hipError_tPvRmT1_T2_T3_mT4_P12ihipStream_tbEUlT_E0_NS1_11comp_targetILNS1_3genE3ELNS1_11target_archE908ELNS1_3gpuE7ELNS1_3repE0EEENS1_30default_config_static_selectorELNS0_4arch9wavefront6targetE0EEEvSF_.has_dyn_sized_stack, 0
	.set _ZN7rocprim17ROCPRIM_400000_NS6detail17trampoline_kernelINS0_14default_configENS1_22reduce_config_selectorIfEEZNS1_11reduce_implILb1ES3_PfS7_fN6thrust23THRUST_200600_302600_NS4plusIfEEEE10hipError_tPvRmT1_T2_T3_mT4_P12ihipStream_tbEUlT_E0_NS1_11comp_targetILNS1_3genE3ELNS1_11target_archE908ELNS1_3gpuE7ELNS1_3repE0EEENS1_30default_config_static_selectorELNS0_4arch9wavefront6targetE0EEEvSF_.has_recursion, 0
	.set _ZN7rocprim17ROCPRIM_400000_NS6detail17trampoline_kernelINS0_14default_configENS1_22reduce_config_selectorIfEEZNS1_11reduce_implILb1ES3_PfS7_fN6thrust23THRUST_200600_302600_NS4plusIfEEEE10hipError_tPvRmT1_T2_T3_mT4_P12ihipStream_tbEUlT_E0_NS1_11comp_targetILNS1_3genE3ELNS1_11target_archE908ELNS1_3gpuE7ELNS1_3repE0EEENS1_30default_config_static_selectorELNS0_4arch9wavefront6targetE0EEEvSF_.has_indirect_call, 0
	.section	.AMDGPU.csdata,"",@progbits
; Kernel info:
; codeLenInByte = 0
; TotalNumSgprs: 0
; NumVgprs: 0
; ScratchSize: 0
; MemoryBound: 0
; FloatMode: 240
; IeeeMode: 1
; LDSByteSize: 0 bytes/workgroup (compile time only)
; SGPRBlocks: 0
; VGPRBlocks: 0
; NumSGPRsForWavesPerEU: 1
; NumVGPRsForWavesPerEU: 1
; Occupancy: 16
; WaveLimiterHint : 0
; COMPUTE_PGM_RSRC2:SCRATCH_EN: 0
; COMPUTE_PGM_RSRC2:USER_SGPR: 6
; COMPUTE_PGM_RSRC2:TRAP_HANDLER: 0
; COMPUTE_PGM_RSRC2:TGID_X_EN: 1
; COMPUTE_PGM_RSRC2:TGID_Y_EN: 0
; COMPUTE_PGM_RSRC2:TGID_Z_EN: 0
; COMPUTE_PGM_RSRC2:TIDIG_COMP_CNT: 0
	.section	.text._ZN7rocprim17ROCPRIM_400000_NS6detail17trampoline_kernelINS0_14default_configENS1_22reduce_config_selectorIfEEZNS1_11reduce_implILb1ES3_PfS7_fN6thrust23THRUST_200600_302600_NS4plusIfEEEE10hipError_tPvRmT1_T2_T3_mT4_P12ihipStream_tbEUlT_E0_NS1_11comp_targetILNS1_3genE2ELNS1_11target_archE906ELNS1_3gpuE6ELNS1_3repE0EEENS1_30default_config_static_selectorELNS0_4arch9wavefront6targetE0EEEvSF_,"axG",@progbits,_ZN7rocprim17ROCPRIM_400000_NS6detail17trampoline_kernelINS0_14default_configENS1_22reduce_config_selectorIfEEZNS1_11reduce_implILb1ES3_PfS7_fN6thrust23THRUST_200600_302600_NS4plusIfEEEE10hipError_tPvRmT1_T2_T3_mT4_P12ihipStream_tbEUlT_E0_NS1_11comp_targetILNS1_3genE2ELNS1_11target_archE906ELNS1_3gpuE6ELNS1_3repE0EEENS1_30default_config_static_selectorELNS0_4arch9wavefront6targetE0EEEvSF_,comdat
	.protected	_ZN7rocprim17ROCPRIM_400000_NS6detail17trampoline_kernelINS0_14default_configENS1_22reduce_config_selectorIfEEZNS1_11reduce_implILb1ES3_PfS7_fN6thrust23THRUST_200600_302600_NS4plusIfEEEE10hipError_tPvRmT1_T2_T3_mT4_P12ihipStream_tbEUlT_E0_NS1_11comp_targetILNS1_3genE2ELNS1_11target_archE906ELNS1_3gpuE6ELNS1_3repE0EEENS1_30default_config_static_selectorELNS0_4arch9wavefront6targetE0EEEvSF_ ; -- Begin function _ZN7rocprim17ROCPRIM_400000_NS6detail17trampoline_kernelINS0_14default_configENS1_22reduce_config_selectorIfEEZNS1_11reduce_implILb1ES3_PfS7_fN6thrust23THRUST_200600_302600_NS4plusIfEEEE10hipError_tPvRmT1_T2_T3_mT4_P12ihipStream_tbEUlT_E0_NS1_11comp_targetILNS1_3genE2ELNS1_11target_archE906ELNS1_3gpuE6ELNS1_3repE0EEENS1_30default_config_static_selectorELNS0_4arch9wavefront6targetE0EEEvSF_
	.globl	_ZN7rocprim17ROCPRIM_400000_NS6detail17trampoline_kernelINS0_14default_configENS1_22reduce_config_selectorIfEEZNS1_11reduce_implILb1ES3_PfS7_fN6thrust23THRUST_200600_302600_NS4plusIfEEEE10hipError_tPvRmT1_T2_T3_mT4_P12ihipStream_tbEUlT_E0_NS1_11comp_targetILNS1_3genE2ELNS1_11target_archE906ELNS1_3gpuE6ELNS1_3repE0EEENS1_30default_config_static_selectorELNS0_4arch9wavefront6targetE0EEEvSF_
	.p2align	8
	.type	_ZN7rocprim17ROCPRIM_400000_NS6detail17trampoline_kernelINS0_14default_configENS1_22reduce_config_selectorIfEEZNS1_11reduce_implILb1ES3_PfS7_fN6thrust23THRUST_200600_302600_NS4plusIfEEEE10hipError_tPvRmT1_T2_T3_mT4_P12ihipStream_tbEUlT_E0_NS1_11comp_targetILNS1_3genE2ELNS1_11target_archE906ELNS1_3gpuE6ELNS1_3repE0EEENS1_30default_config_static_selectorELNS0_4arch9wavefront6targetE0EEEvSF_,@function
_ZN7rocprim17ROCPRIM_400000_NS6detail17trampoline_kernelINS0_14default_configENS1_22reduce_config_selectorIfEEZNS1_11reduce_implILb1ES3_PfS7_fN6thrust23THRUST_200600_302600_NS4plusIfEEEE10hipError_tPvRmT1_T2_T3_mT4_P12ihipStream_tbEUlT_E0_NS1_11comp_targetILNS1_3genE2ELNS1_11target_archE906ELNS1_3gpuE6ELNS1_3repE0EEENS1_30default_config_static_selectorELNS0_4arch9wavefront6targetE0EEEvSF_: ; @_ZN7rocprim17ROCPRIM_400000_NS6detail17trampoline_kernelINS0_14default_configENS1_22reduce_config_selectorIfEEZNS1_11reduce_implILb1ES3_PfS7_fN6thrust23THRUST_200600_302600_NS4plusIfEEEE10hipError_tPvRmT1_T2_T3_mT4_P12ihipStream_tbEUlT_E0_NS1_11comp_targetILNS1_3genE2ELNS1_11target_archE906ELNS1_3gpuE6ELNS1_3repE0EEENS1_30default_config_static_selectorELNS0_4arch9wavefront6targetE0EEEvSF_
; %bb.0:
	.section	.rodata,"a",@progbits
	.p2align	6, 0x0
	.amdhsa_kernel _ZN7rocprim17ROCPRIM_400000_NS6detail17trampoline_kernelINS0_14default_configENS1_22reduce_config_selectorIfEEZNS1_11reduce_implILb1ES3_PfS7_fN6thrust23THRUST_200600_302600_NS4plusIfEEEE10hipError_tPvRmT1_T2_T3_mT4_P12ihipStream_tbEUlT_E0_NS1_11comp_targetILNS1_3genE2ELNS1_11target_archE906ELNS1_3gpuE6ELNS1_3repE0EEENS1_30default_config_static_selectorELNS0_4arch9wavefront6targetE0EEEvSF_
		.amdhsa_group_segment_fixed_size 0
		.amdhsa_private_segment_fixed_size 0
		.amdhsa_kernarg_size 56
		.amdhsa_user_sgpr_count 6
		.amdhsa_user_sgpr_private_segment_buffer 1
		.amdhsa_user_sgpr_dispatch_ptr 0
		.amdhsa_user_sgpr_queue_ptr 0
		.amdhsa_user_sgpr_kernarg_segment_ptr 1
		.amdhsa_user_sgpr_dispatch_id 0
		.amdhsa_user_sgpr_flat_scratch_init 0
		.amdhsa_user_sgpr_private_segment_size 0
		.amdhsa_wavefront_size32 1
		.amdhsa_uses_dynamic_stack 0
		.amdhsa_system_sgpr_private_segment_wavefront_offset 0
		.amdhsa_system_sgpr_workgroup_id_x 1
		.amdhsa_system_sgpr_workgroup_id_y 0
		.amdhsa_system_sgpr_workgroup_id_z 0
		.amdhsa_system_sgpr_workgroup_info 0
		.amdhsa_system_vgpr_workitem_id 0
		.amdhsa_next_free_vgpr 1
		.amdhsa_next_free_sgpr 1
		.amdhsa_reserve_vcc 0
		.amdhsa_reserve_flat_scratch 0
		.amdhsa_float_round_mode_32 0
		.amdhsa_float_round_mode_16_64 0
		.amdhsa_float_denorm_mode_32 3
		.amdhsa_float_denorm_mode_16_64 3
		.amdhsa_dx10_clamp 1
		.amdhsa_ieee_mode 1
		.amdhsa_fp16_overflow 0
		.amdhsa_workgroup_processor_mode 1
		.amdhsa_memory_ordered 1
		.amdhsa_forward_progress 1
		.amdhsa_shared_vgpr_count 0
		.amdhsa_exception_fp_ieee_invalid_op 0
		.amdhsa_exception_fp_denorm_src 0
		.amdhsa_exception_fp_ieee_div_zero 0
		.amdhsa_exception_fp_ieee_overflow 0
		.amdhsa_exception_fp_ieee_underflow 0
		.amdhsa_exception_fp_ieee_inexact 0
		.amdhsa_exception_int_div_zero 0
	.end_amdhsa_kernel
	.section	.text._ZN7rocprim17ROCPRIM_400000_NS6detail17trampoline_kernelINS0_14default_configENS1_22reduce_config_selectorIfEEZNS1_11reduce_implILb1ES3_PfS7_fN6thrust23THRUST_200600_302600_NS4plusIfEEEE10hipError_tPvRmT1_T2_T3_mT4_P12ihipStream_tbEUlT_E0_NS1_11comp_targetILNS1_3genE2ELNS1_11target_archE906ELNS1_3gpuE6ELNS1_3repE0EEENS1_30default_config_static_selectorELNS0_4arch9wavefront6targetE0EEEvSF_,"axG",@progbits,_ZN7rocprim17ROCPRIM_400000_NS6detail17trampoline_kernelINS0_14default_configENS1_22reduce_config_selectorIfEEZNS1_11reduce_implILb1ES3_PfS7_fN6thrust23THRUST_200600_302600_NS4plusIfEEEE10hipError_tPvRmT1_T2_T3_mT4_P12ihipStream_tbEUlT_E0_NS1_11comp_targetILNS1_3genE2ELNS1_11target_archE906ELNS1_3gpuE6ELNS1_3repE0EEENS1_30default_config_static_selectorELNS0_4arch9wavefront6targetE0EEEvSF_,comdat
.Lfunc_end4:
	.size	_ZN7rocprim17ROCPRIM_400000_NS6detail17trampoline_kernelINS0_14default_configENS1_22reduce_config_selectorIfEEZNS1_11reduce_implILb1ES3_PfS7_fN6thrust23THRUST_200600_302600_NS4plusIfEEEE10hipError_tPvRmT1_T2_T3_mT4_P12ihipStream_tbEUlT_E0_NS1_11comp_targetILNS1_3genE2ELNS1_11target_archE906ELNS1_3gpuE6ELNS1_3repE0EEENS1_30default_config_static_selectorELNS0_4arch9wavefront6targetE0EEEvSF_, .Lfunc_end4-_ZN7rocprim17ROCPRIM_400000_NS6detail17trampoline_kernelINS0_14default_configENS1_22reduce_config_selectorIfEEZNS1_11reduce_implILb1ES3_PfS7_fN6thrust23THRUST_200600_302600_NS4plusIfEEEE10hipError_tPvRmT1_T2_T3_mT4_P12ihipStream_tbEUlT_E0_NS1_11comp_targetILNS1_3genE2ELNS1_11target_archE906ELNS1_3gpuE6ELNS1_3repE0EEENS1_30default_config_static_selectorELNS0_4arch9wavefront6targetE0EEEvSF_
                                        ; -- End function
	.set _ZN7rocprim17ROCPRIM_400000_NS6detail17trampoline_kernelINS0_14default_configENS1_22reduce_config_selectorIfEEZNS1_11reduce_implILb1ES3_PfS7_fN6thrust23THRUST_200600_302600_NS4plusIfEEEE10hipError_tPvRmT1_T2_T3_mT4_P12ihipStream_tbEUlT_E0_NS1_11comp_targetILNS1_3genE2ELNS1_11target_archE906ELNS1_3gpuE6ELNS1_3repE0EEENS1_30default_config_static_selectorELNS0_4arch9wavefront6targetE0EEEvSF_.num_vgpr, 0
	.set _ZN7rocprim17ROCPRIM_400000_NS6detail17trampoline_kernelINS0_14default_configENS1_22reduce_config_selectorIfEEZNS1_11reduce_implILb1ES3_PfS7_fN6thrust23THRUST_200600_302600_NS4plusIfEEEE10hipError_tPvRmT1_T2_T3_mT4_P12ihipStream_tbEUlT_E0_NS1_11comp_targetILNS1_3genE2ELNS1_11target_archE906ELNS1_3gpuE6ELNS1_3repE0EEENS1_30default_config_static_selectorELNS0_4arch9wavefront6targetE0EEEvSF_.num_agpr, 0
	.set _ZN7rocprim17ROCPRIM_400000_NS6detail17trampoline_kernelINS0_14default_configENS1_22reduce_config_selectorIfEEZNS1_11reduce_implILb1ES3_PfS7_fN6thrust23THRUST_200600_302600_NS4plusIfEEEE10hipError_tPvRmT1_T2_T3_mT4_P12ihipStream_tbEUlT_E0_NS1_11comp_targetILNS1_3genE2ELNS1_11target_archE906ELNS1_3gpuE6ELNS1_3repE0EEENS1_30default_config_static_selectorELNS0_4arch9wavefront6targetE0EEEvSF_.numbered_sgpr, 0
	.set _ZN7rocprim17ROCPRIM_400000_NS6detail17trampoline_kernelINS0_14default_configENS1_22reduce_config_selectorIfEEZNS1_11reduce_implILb1ES3_PfS7_fN6thrust23THRUST_200600_302600_NS4plusIfEEEE10hipError_tPvRmT1_T2_T3_mT4_P12ihipStream_tbEUlT_E0_NS1_11comp_targetILNS1_3genE2ELNS1_11target_archE906ELNS1_3gpuE6ELNS1_3repE0EEENS1_30default_config_static_selectorELNS0_4arch9wavefront6targetE0EEEvSF_.num_named_barrier, 0
	.set _ZN7rocprim17ROCPRIM_400000_NS6detail17trampoline_kernelINS0_14default_configENS1_22reduce_config_selectorIfEEZNS1_11reduce_implILb1ES3_PfS7_fN6thrust23THRUST_200600_302600_NS4plusIfEEEE10hipError_tPvRmT1_T2_T3_mT4_P12ihipStream_tbEUlT_E0_NS1_11comp_targetILNS1_3genE2ELNS1_11target_archE906ELNS1_3gpuE6ELNS1_3repE0EEENS1_30default_config_static_selectorELNS0_4arch9wavefront6targetE0EEEvSF_.private_seg_size, 0
	.set _ZN7rocprim17ROCPRIM_400000_NS6detail17trampoline_kernelINS0_14default_configENS1_22reduce_config_selectorIfEEZNS1_11reduce_implILb1ES3_PfS7_fN6thrust23THRUST_200600_302600_NS4plusIfEEEE10hipError_tPvRmT1_T2_T3_mT4_P12ihipStream_tbEUlT_E0_NS1_11comp_targetILNS1_3genE2ELNS1_11target_archE906ELNS1_3gpuE6ELNS1_3repE0EEENS1_30default_config_static_selectorELNS0_4arch9wavefront6targetE0EEEvSF_.uses_vcc, 0
	.set _ZN7rocprim17ROCPRIM_400000_NS6detail17trampoline_kernelINS0_14default_configENS1_22reduce_config_selectorIfEEZNS1_11reduce_implILb1ES3_PfS7_fN6thrust23THRUST_200600_302600_NS4plusIfEEEE10hipError_tPvRmT1_T2_T3_mT4_P12ihipStream_tbEUlT_E0_NS1_11comp_targetILNS1_3genE2ELNS1_11target_archE906ELNS1_3gpuE6ELNS1_3repE0EEENS1_30default_config_static_selectorELNS0_4arch9wavefront6targetE0EEEvSF_.uses_flat_scratch, 0
	.set _ZN7rocprim17ROCPRIM_400000_NS6detail17trampoline_kernelINS0_14default_configENS1_22reduce_config_selectorIfEEZNS1_11reduce_implILb1ES3_PfS7_fN6thrust23THRUST_200600_302600_NS4plusIfEEEE10hipError_tPvRmT1_T2_T3_mT4_P12ihipStream_tbEUlT_E0_NS1_11comp_targetILNS1_3genE2ELNS1_11target_archE906ELNS1_3gpuE6ELNS1_3repE0EEENS1_30default_config_static_selectorELNS0_4arch9wavefront6targetE0EEEvSF_.has_dyn_sized_stack, 0
	.set _ZN7rocprim17ROCPRIM_400000_NS6detail17trampoline_kernelINS0_14default_configENS1_22reduce_config_selectorIfEEZNS1_11reduce_implILb1ES3_PfS7_fN6thrust23THRUST_200600_302600_NS4plusIfEEEE10hipError_tPvRmT1_T2_T3_mT4_P12ihipStream_tbEUlT_E0_NS1_11comp_targetILNS1_3genE2ELNS1_11target_archE906ELNS1_3gpuE6ELNS1_3repE0EEENS1_30default_config_static_selectorELNS0_4arch9wavefront6targetE0EEEvSF_.has_recursion, 0
	.set _ZN7rocprim17ROCPRIM_400000_NS6detail17trampoline_kernelINS0_14default_configENS1_22reduce_config_selectorIfEEZNS1_11reduce_implILb1ES3_PfS7_fN6thrust23THRUST_200600_302600_NS4plusIfEEEE10hipError_tPvRmT1_T2_T3_mT4_P12ihipStream_tbEUlT_E0_NS1_11comp_targetILNS1_3genE2ELNS1_11target_archE906ELNS1_3gpuE6ELNS1_3repE0EEENS1_30default_config_static_selectorELNS0_4arch9wavefront6targetE0EEEvSF_.has_indirect_call, 0
	.section	.AMDGPU.csdata,"",@progbits
; Kernel info:
; codeLenInByte = 0
; TotalNumSgprs: 0
; NumVgprs: 0
; ScratchSize: 0
; MemoryBound: 0
; FloatMode: 240
; IeeeMode: 1
; LDSByteSize: 0 bytes/workgroup (compile time only)
; SGPRBlocks: 0
; VGPRBlocks: 0
; NumSGPRsForWavesPerEU: 1
; NumVGPRsForWavesPerEU: 1
; Occupancy: 16
; WaveLimiterHint : 0
; COMPUTE_PGM_RSRC2:SCRATCH_EN: 0
; COMPUTE_PGM_RSRC2:USER_SGPR: 6
; COMPUTE_PGM_RSRC2:TRAP_HANDLER: 0
; COMPUTE_PGM_RSRC2:TGID_X_EN: 1
; COMPUTE_PGM_RSRC2:TGID_Y_EN: 0
; COMPUTE_PGM_RSRC2:TGID_Z_EN: 0
; COMPUTE_PGM_RSRC2:TIDIG_COMP_CNT: 0
	.section	.text._ZN7rocprim17ROCPRIM_400000_NS6detail17trampoline_kernelINS0_14default_configENS1_22reduce_config_selectorIfEEZNS1_11reduce_implILb1ES3_PfS7_fN6thrust23THRUST_200600_302600_NS4plusIfEEEE10hipError_tPvRmT1_T2_T3_mT4_P12ihipStream_tbEUlT_E0_NS1_11comp_targetILNS1_3genE10ELNS1_11target_archE1201ELNS1_3gpuE5ELNS1_3repE0EEENS1_30default_config_static_selectorELNS0_4arch9wavefront6targetE0EEEvSF_,"axG",@progbits,_ZN7rocprim17ROCPRIM_400000_NS6detail17trampoline_kernelINS0_14default_configENS1_22reduce_config_selectorIfEEZNS1_11reduce_implILb1ES3_PfS7_fN6thrust23THRUST_200600_302600_NS4plusIfEEEE10hipError_tPvRmT1_T2_T3_mT4_P12ihipStream_tbEUlT_E0_NS1_11comp_targetILNS1_3genE10ELNS1_11target_archE1201ELNS1_3gpuE5ELNS1_3repE0EEENS1_30default_config_static_selectorELNS0_4arch9wavefront6targetE0EEEvSF_,comdat
	.protected	_ZN7rocprim17ROCPRIM_400000_NS6detail17trampoline_kernelINS0_14default_configENS1_22reduce_config_selectorIfEEZNS1_11reduce_implILb1ES3_PfS7_fN6thrust23THRUST_200600_302600_NS4plusIfEEEE10hipError_tPvRmT1_T2_T3_mT4_P12ihipStream_tbEUlT_E0_NS1_11comp_targetILNS1_3genE10ELNS1_11target_archE1201ELNS1_3gpuE5ELNS1_3repE0EEENS1_30default_config_static_selectorELNS0_4arch9wavefront6targetE0EEEvSF_ ; -- Begin function _ZN7rocprim17ROCPRIM_400000_NS6detail17trampoline_kernelINS0_14default_configENS1_22reduce_config_selectorIfEEZNS1_11reduce_implILb1ES3_PfS7_fN6thrust23THRUST_200600_302600_NS4plusIfEEEE10hipError_tPvRmT1_T2_T3_mT4_P12ihipStream_tbEUlT_E0_NS1_11comp_targetILNS1_3genE10ELNS1_11target_archE1201ELNS1_3gpuE5ELNS1_3repE0EEENS1_30default_config_static_selectorELNS0_4arch9wavefront6targetE0EEEvSF_
	.globl	_ZN7rocprim17ROCPRIM_400000_NS6detail17trampoline_kernelINS0_14default_configENS1_22reduce_config_selectorIfEEZNS1_11reduce_implILb1ES3_PfS7_fN6thrust23THRUST_200600_302600_NS4plusIfEEEE10hipError_tPvRmT1_T2_T3_mT4_P12ihipStream_tbEUlT_E0_NS1_11comp_targetILNS1_3genE10ELNS1_11target_archE1201ELNS1_3gpuE5ELNS1_3repE0EEENS1_30default_config_static_selectorELNS0_4arch9wavefront6targetE0EEEvSF_
	.p2align	8
	.type	_ZN7rocprim17ROCPRIM_400000_NS6detail17trampoline_kernelINS0_14default_configENS1_22reduce_config_selectorIfEEZNS1_11reduce_implILb1ES3_PfS7_fN6thrust23THRUST_200600_302600_NS4plusIfEEEE10hipError_tPvRmT1_T2_T3_mT4_P12ihipStream_tbEUlT_E0_NS1_11comp_targetILNS1_3genE10ELNS1_11target_archE1201ELNS1_3gpuE5ELNS1_3repE0EEENS1_30default_config_static_selectorELNS0_4arch9wavefront6targetE0EEEvSF_,@function
_ZN7rocprim17ROCPRIM_400000_NS6detail17trampoline_kernelINS0_14default_configENS1_22reduce_config_selectorIfEEZNS1_11reduce_implILb1ES3_PfS7_fN6thrust23THRUST_200600_302600_NS4plusIfEEEE10hipError_tPvRmT1_T2_T3_mT4_P12ihipStream_tbEUlT_E0_NS1_11comp_targetILNS1_3genE10ELNS1_11target_archE1201ELNS1_3gpuE5ELNS1_3repE0EEENS1_30default_config_static_selectorELNS0_4arch9wavefront6targetE0EEEvSF_: ; @_ZN7rocprim17ROCPRIM_400000_NS6detail17trampoline_kernelINS0_14default_configENS1_22reduce_config_selectorIfEEZNS1_11reduce_implILb1ES3_PfS7_fN6thrust23THRUST_200600_302600_NS4plusIfEEEE10hipError_tPvRmT1_T2_T3_mT4_P12ihipStream_tbEUlT_E0_NS1_11comp_targetILNS1_3genE10ELNS1_11target_archE1201ELNS1_3gpuE5ELNS1_3repE0EEENS1_30default_config_static_selectorELNS0_4arch9wavefront6targetE0EEEvSF_
; %bb.0:
	.section	.rodata,"a",@progbits
	.p2align	6, 0x0
	.amdhsa_kernel _ZN7rocprim17ROCPRIM_400000_NS6detail17trampoline_kernelINS0_14default_configENS1_22reduce_config_selectorIfEEZNS1_11reduce_implILb1ES3_PfS7_fN6thrust23THRUST_200600_302600_NS4plusIfEEEE10hipError_tPvRmT1_T2_T3_mT4_P12ihipStream_tbEUlT_E0_NS1_11comp_targetILNS1_3genE10ELNS1_11target_archE1201ELNS1_3gpuE5ELNS1_3repE0EEENS1_30default_config_static_selectorELNS0_4arch9wavefront6targetE0EEEvSF_
		.amdhsa_group_segment_fixed_size 0
		.amdhsa_private_segment_fixed_size 0
		.amdhsa_kernarg_size 56
		.amdhsa_user_sgpr_count 6
		.amdhsa_user_sgpr_private_segment_buffer 1
		.amdhsa_user_sgpr_dispatch_ptr 0
		.amdhsa_user_sgpr_queue_ptr 0
		.amdhsa_user_sgpr_kernarg_segment_ptr 1
		.amdhsa_user_sgpr_dispatch_id 0
		.amdhsa_user_sgpr_flat_scratch_init 0
		.amdhsa_user_sgpr_private_segment_size 0
		.amdhsa_wavefront_size32 1
		.amdhsa_uses_dynamic_stack 0
		.amdhsa_system_sgpr_private_segment_wavefront_offset 0
		.amdhsa_system_sgpr_workgroup_id_x 1
		.amdhsa_system_sgpr_workgroup_id_y 0
		.amdhsa_system_sgpr_workgroup_id_z 0
		.amdhsa_system_sgpr_workgroup_info 0
		.amdhsa_system_vgpr_workitem_id 0
		.amdhsa_next_free_vgpr 1
		.amdhsa_next_free_sgpr 1
		.amdhsa_reserve_vcc 0
		.amdhsa_reserve_flat_scratch 0
		.amdhsa_float_round_mode_32 0
		.amdhsa_float_round_mode_16_64 0
		.amdhsa_float_denorm_mode_32 3
		.amdhsa_float_denorm_mode_16_64 3
		.amdhsa_dx10_clamp 1
		.amdhsa_ieee_mode 1
		.amdhsa_fp16_overflow 0
		.amdhsa_workgroup_processor_mode 1
		.amdhsa_memory_ordered 1
		.amdhsa_forward_progress 1
		.amdhsa_shared_vgpr_count 0
		.amdhsa_exception_fp_ieee_invalid_op 0
		.amdhsa_exception_fp_denorm_src 0
		.amdhsa_exception_fp_ieee_div_zero 0
		.amdhsa_exception_fp_ieee_overflow 0
		.amdhsa_exception_fp_ieee_underflow 0
		.amdhsa_exception_fp_ieee_inexact 0
		.amdhsa_exception_int_div_zero 0
	.end_amdhsa_kernel
	.section	.text._ZN7rocprim17ROCPRIM_400000_NS6detail17trampoline_kernelINS0_14default_configENS1_22reduce_config_selectorIfEEZNS1_11reduce_implILb1ES3_PfS7_fN6thrust23THRUST_200600_302600_NS4plusIfEEEE10hipError_tPvRmT1_T2_T3_mT4_P12ihipStream_tbEUlT_E0_NS1_11comp_targetILNS1_3genE10ELNS1_11target_archE1201ELNS1_3gpuE5ELNS1_3repE0EEENS1_30default_config_static_selectorELNS0_4arch9wavefront6targetE0EEEvSF_,"axG",@progbits,_ZN7rocprim17ROCPRIM_400000_NS6detail17trampoline_kernelINS0_14default_configENS1_22reduce_config_selectorIfEEZNS1_11reduce_implILb1ES3_PfS7_fN6thrust23THRUST_200600_302600_NS4plusIfEEEE10hipError_tPvRmT1_T2_T3_mT4_P12ihipStream_tbEUlT_E0_NS1_11comp_targetILNS1_3genE10ELNS1_11target_archE1201ELNS1_3gpuE5ELNS1_3repE0EEENS1_30default_config_static_selectorELNS0_4arch9wavefront6targetE0EEEvSF_,comdat
.Lfunc_end5:
	.size	_ZN7rocprim17ROCPRIM_400000_NS6detail17trampoline_kernelINS0_14default_configENS1_22reduce_config_selectorIfEEZNS1_11reduce_implILb1ES3_PfS7_fN6thrust23THRUST_200600_302600_NS4plusIfEEEE10hipError_tPvRmT1_T2_T3_mT4_P12ihipStream_tbEUlT_E0_NS1_11comp_targetILNS1_3genE10ELNS1_11target_archE1201ELNS1_3gpuE5ELNS1_3repE0EEENS1_30default_config_static_selectorELNS0_4arch9wavefront6targetE0EEEvSF_, .Lfunc_end5-_ZN7rocprim17ROCPRIM_400000_NS6detail17trampoline_kernelINS0_14default_configENS1_22reduce_config_selectorIfEEZNS1_11reduce_implILb1ES3_PfS7_fN6thrust23THRUST_200600_302600_NS4plusIfEEEE10hipError_tPvRmT1_T2_T3_mT4_P12ihipStream_tbEUlT_E0_NS1_11comp_targetILNS1_3genE10ELNS1_11target_archE1201ELNS1_3gpuE5ELNS1_3repE0EEENS1_30default_config_static_selectorELNS0_4arch9wavefront6targetE0EEEvSF_
                                        ; -- End function
	.set _ZN7rocprim17ROCPRIM_400000_NS6detail17trampoline_kernelINS0_14default_configENS1_22reduce_config_selectorIfEEZNS1_11reduce_implILb1ES3_PfS7_fN6thrust23THRUST_200600_302600_NS4plusIfEEEE10hipError_tPvRmT1_T2_T3_mT4_P12ihipStream_tbEUlT_E0_NS1_11comp_targetILNS1_3genE10ELNS1_11target_archE1201ELNS1_3gpuE5ELNS1_3repE0EEENS1_30default_config_static_selectorELNS0_4arch9wavefront6targetE0EEEvSF_.num_vgpr, 0
	.set _ZN7rocprim17ROCPRIM_400000_NS6detail17trampoline_kernelINS0_14default_configENS1_22reduce_config_selectorIfEEZNS1_11reduce_implILb1ES3_PfS7_fN6thrust23THRUST_200600_302600_NS4plusIfEEEE10hipError_tPvRmT1_T2_T3_mT4_P12ihipStream_tbEUlT_E0_NS1_11comp_targetILNS1_3genE10ELNS1_11target_archE1201ELNS1_3gpuE5ELNS1_3repE0EEENS1_30default_config_static_selectorELNS0_4arch9wavefront6targetE0EEEvSF_.num_agpr, 0
	.set _ZN7rocprim17ROCPRIM_400000_NS6detail17trampoline_kernelINS0_14default_configENS1_22reduce_config_selectorIfEEZNS1_11reduce_implILb1ES3_PfS7_fN6thrust23THRUST_200600_302600_NS4plusIfEEEE10hipError_tPvRmT1_T2_T3_mT4_P12ihipStream_tbEUlT_E0_NS1_11comp_targetILNS1_3genE10ELNS1_11target_archE1201ELNS1_3gpuE5ELNS1_3repE0EEENS1_30default_config_static_selectorELNS0_4arch9wavefront6targetE0EEEvSF_.numbered_sgpr, 0
	.set _ZN7rocprim17ROCPRIM_400000_NS6detail17trampoline_kernelINS0_14default_configENS1_22reduce_config_selectorIfEEZNS1_11reduce_implILb1ES3_PfS7_fN6thrust23THRUST_200600_302600_NS4plusIfEEEE10hipError_tPvRmT1_T2_T3_mT4_P12ihipStream_tbEUlT_E0_NS1_11comp_targetILNS1_3genE10ELNS1_11target_archE1201ELNS1_3gpuE5ELNS1_3repE0EEENS1_30default_config_static_selectorELNS0_4arch9wavefront6targetE0EEEvSF_.num_named_barrier, 0
	.set _ZN7rocprim17ROCPRIM_400000_NS6detail17trampoline_kernelINS0_14default_configENS1_22reduce_config_selectorIfEEZNS1_11reduce_implILb1ES3_PfS7_fN6thrust23THRUST_200600_302600_NS4plusIfEEEE10hipError_tPvRmT1_T2_T3_mT4_P12ihipStream_tbEUlT_E0_NS1_11comp_targetILNS1_3genE10ELNS1_11target_archE1201ELNS1_3gpuE5ELNS1_3repE0EEENS1_30default_config_static_selectorELNS0_4arch9wavefront6targetE0EEEvSF_.private_seg_size, 0
	.set _ZN7rocprim17ROCPRIM_400000_NS6detail17trampoline_kernelINS0_14default_configENS1_22reduce_config_selectorIfEEZNS1_11reduce_implILb1ES3_PfS7_fN6thrust23THRUST_200600_302600_NS4plusIfEEEE10hipError_tPvRmT1_T2_T3_mT4_P12ihipStream_tbEUlT_E0_NS1_11comp_targetILNS1_3genE10ELNS1_11target_archE1201ELNS1_3gpuE5ELNS1_3repE0EEENS1_30default_config_static_selectorELNS0_4arch9wavefront6targetE0EEEvSF_.uses_vcc, 0
	.set _ZN7rocprim17ROCPRIM_400000_NS6detail17trampoline_kernelINS0_14default_configENS1_22reduce_config_selectorIfEEZNS1_11reduce_implILb1ES3_PfS7_fN6thrust23THRUST_200600_302600_NS4plusIfEEEE10hipError_tPvRmT1_T2_T3_mT4_P12ihipStream_tbEUlT_E0_NS1_11comp_targetILNS1_3genE10ELNS1_11target_archE1201ELNS1_3gpuE5ELNS1_3repE0EEENS1_30default_config_static_selectorELNS0_4arch9wavefront6targetE0EEEvSF_.uses_flat_scratch, 0
	.set _ZN7rocprim17ROCPRIM_400000_NS6detail17trampoline_kernelINS0_14default_configENS1_22reduce_config_selectorIfEEZNS1_11reduce_implILb1ES3_PfS7_fN6thrust23THRUST_200600_302600_NS4plusIfEEEE10hipError_tPvRmT1_T2_T3_mT4_P12ihipStream_tbEUlT_E0_NS1_11comp_targetILNS1_3genE10ELNS1_11target_archE1201ELNS1_3gpuE5ELNS1_3repE0EEENS1_30default_config_static_selectorELNS0_4arch9wavefront6targetE0EEEvSF_.has_dyn_sized_stack, 0
	.set _ZN7rocprim17ROCPRIM_400000_NS6detail17trampoline_kernelINS0_14default_configENS1_22reduce_config_selectorIfEEZNS1_11reduce_implILb1ES3_PfS7_fN6thrust23THRUST_200600_302600_NS4plusIfEEEE10hipError_tPvRmT1_T2_T3_mT4_P12ihipStream_tbEUlT_E0_NS1_11comp_targetILNS1_3genE10ELNS1_11target_archE1201ELNS1_3gpuE5ELNS1_3repE0EEENS1_30default_config_static_selectorELNS0_4arch9wavefront6targetE0EEEvSF_.has_recursion, 0
	.set _ZN7rocprim17ROCPRIM_400000_NS6detail17trampoline_kernelINS0_14default_configENS1_22reduce_config_selectorIfEEZNS1_11reduce_implILb1ES3_PfS7_fN6thrust23THRUST_200600_302600_NS4plusIfEEEE10hipError_tPvRmT1_T2_T3_mT4_P12ihipStream_tbEUlT_E0_NS1_11comp_targetILNS1_3genE10ELNS1_11target_archE1201ELNS1_3gpuE5ELNS1_3repE0EEENS1_30default_config_static_selectorELNS0_4arch9wavefront6targetE0EEEvSF_.has_indirect_call, 0
	.section	.AMDGPU.csdata,"",@progbits
; Kernel info:
; codeLenInByte = 0
; TotalNumSgprs: 0
; NumVgprs: 0
; ScratchSize: 0
; MemoryBound: 0
; FloatMode: 240
; IeeeMode: 1
; LDSByteSize: 0 bytes/workgroup (compile time only)
; SGPRBlocks: 0
; VGPRBlocks: 0
; NumSGPRsForWavesPerEU: 1
; NumVGPRsForWavesPerEU: 1
; Occupancy: 16
; WaveLimiterHint : 0
; COMPUTE_PGM_RSRC2:SCRATCH_EN: 0
; COMPUTE_PGM_RSRC2:USER_SGPR: 6
; COMPUTE_PGM_RSRC2:TRAP_HANDLER: 0
; COMPUTE_PGM_RSRC2:TGID_X_EN: 1
; COMPUTE_PGM_RSRC2:TGID_Y_EN: 0
; COMPUTE_PGM_RSRC2:TGID_Z_EN: 0
; COMPUTE_PGM_RSRC2:TIDIG_COMP_CNT: 0
	.section	.text._ZN7rocprim17ROCPRIM_400000_NS6detail17trampoline_kernelINS0_14default_configENS1_22reduce_config_selectorIfEEZNS1_11reduce_implILb1ES3_PfS7_fN6thrust23THRUST_200600_302600_NS4plusIfEEEE10hipError_tPvRmT1_T2_T3_mT4_P12ihipStream_tbEUlT_E0_NS1_11comp_targetILNS1_3genE10ELNS1_11target_archE1200ELNS1_3gpuE4ELNS1_3repE0EEENS1_30default_config_static_selectorELNS0_4arch9wavefront6targetE0EEEvSF_,"axG",@progbits,_ZN7rocprim17ROCPRIM_400000_NS6detail17trampoline_kernelINS0_14default_configENS1_22reduce_config_selectorIfEEZNS1_11reduce_implILb1ES3_PfS7_fN6thrust23THRUST_200600_302600_NS4plusIfEEEE10hipError_tPvRmT1_T2_T3_mT4_P12ihipStream_tbEUlT_E0_NS1_11comp_targetILNS1_3genE10ELNS1_11target_archE1200ELNS1_3gpuE4ELNS1_3repE0EEENS1_30default_config_static_selectorELNS0_4arch9wavefront6targetE0EEEvSF_,comdat
	.protected	_ZN7rocprim17ROCPRIM_400000_NS6detail17trampoline_kernelINS0_14default_configENS1_22reduce_config_selectorIfEEZNS1_11reduce_implILb1ES3_PfS7_fN6thrust23THRUST_200600_302600_NS4plusIfEEEE10hipError_tPvRmT1_T2_T3_mT4_P12ihipStream_tbEUlT_E0_NS1_11comp_targetILNS1_3genE10ELNS1_11target_archE1200ELNS1_3gpuE4ELNS1_3repE0EEENS1_30default_config_static_selectorELNS0_4arch9wavefront6targetE0EEEvSF_ ; -- Begin function _ZN7rocprim17ROCPRIM_400000_NS6detail17trampoline_kernelINS0_14default_configENS1_22reduce_config_selectorIfEEZNS1_11reduce_implILb1ES3_PfS7_fN6thrust23THRUST_200600_302600_NS4plusIfEEEE10hipError_tPvRmT1_T2_T3_mT4_P12ihipStream_tbEUlT_E0_NS1_11comp_targetILNS1_3genE10ELNS1_11target_archE1200ELNS1_3gpuE4ELNS1_3repE0EEENS1_30default_config_static_selectorELNS0_4arch9wavefront6targetE0EEEvSF_
	.globl	_ZN7rocprim17ROCPRIM_400000_NS6detail17trampoline_kernelINS0_14default_configENS1_22reduce_config_selectorIfEEZNS1_11reduce_implILb1ES3_PfS7_fN6thrust23THRUST_200600_302600_NS4plusIfEEEE10hipError_tPvRmT1_T2_T3_mT4_P12ihipStream_tbEUlT_E0_NS1_11comp_targetILNS1_3genE10ELNS1_11target_archE1200ELNS1_3gpuE4ELNS1_3repE0EEENS1_30default_config_static_selectorELNS0_4arch9wavefront6targetE0EEEvSF_
	.p2align	8
	.type	_ZN7rocprim17ROCPRIM_400000_NS6detail17trampoline_kernelINS0_14default_configENS1_22reduce_config_selectorIfEEZNS1_11reduce_implILb1ES3_PfS7_fN6thrust23THRUST_200600_302600_NS4plusIfEEEE10hipError_tPvRmT1_T2_T3_mT4_P12ihipStream_tbEUlT_E0_NS1_11comp_targetILNS1_3genE10ELNS1_11target_archE1200ELNS1_3gpuE4ELNS1_3repE0EEENS1_30default_config_static_selectorELNS0_4arch9wavefront6targetE0EEEvSF_,@function
_ZN7rocprim17ROCPRIM_400000_NS6detail17trampoline_kernelINS0_14default_configENS1_22reduce_config_selectorIfEEZNS1_11reduce_implILb1ES3_PfS7_fN6thrust23THRUST_200600_302600_NS4plusIfEEEE10hipError_tPvRmT1_T2_T3_mT4_P12ihipStream_tbEUlT_E0_NS1_11comp_targetILNS1_3genE10ELNS1_11target_archE1200ELNS1_3gpuE4ELNS1_3repE0EEENS1_30default_config_static_selectorELNS0_4arch9wavefront6targetE0EEEvSF_: ; @_ZN7rocprim17ROCPRIM_400000_NS6detail17trampoline_kernelINS0_14default_configENS1_22reduce_config_selectorIfEEZNS1_11reduce_implILb1ES3_PfS7_fN6thrust23THRUST_200600_302600_NS4plusIfEEEE10hipError_tPvRmT1_T2_T3_mT4_P12ihipStream_tbEUlT_E0_NS1_11comp_targetILNS1_3genE10ELNS1_11target_archE1200ELNS1_3gpuE4ELNS1_3repE0EEENS1_30default_config_static_selectorELNS0_4arch9wavefront6targetE0EEEvSF_
; %bb.0:
	.section	.rodata,"a",@progbits
	.p2align	6, 0x0
	.amdhsa_kernel _ZN7rocprim17ROCPRIM_400000_NS6detail17trampoline_kernelINS0_14default_configENS1_22reduce_config_selectorIfEEZNS1_11reduce_implILb1ES3_PfS7_fN6thrust23THRUST_200600_302600_NS4plusIfEEEE10hipError_tPvRmT1_T2_T3_mT4_P12ihipStream_tbEUlT_E0_NS1_11comp_targetILNS1_3genE10ELNS1_11target_archE1200ELNS1_3gpuE4ELNS1_3repE0EEENS1_30default_config_static_selectorELNS0_4arch9wavefront6targetE0EEEvSF_
		.amdhsa_group_segment_fixed_size 0
		.amdhsa_private_segment_fixed_size 0
		.amdhsa_kernarg_size 56
		.amdhsa_user_sgpr_count 6
		.amdhsa_user_sgpr_private_segment_buffer 1
		.amdhsa_user_sgpr_dispatch_ptr 0
		.amdhsa_user_sgpr_queue_ptr 0
		.amdhsa_user_sgpr_kernarg_segment_ptr 1
		.amdhsa_user_sgpr_dispatch_id 0
		.amdhsa_user_sgpr_flat_scratch_init 0
		.amdhsa_user_sgpr_private_segment_size 0
		.amdhsa_wavefront_size32 1
		.amdhsa_uses_dynamic_stack 0
		.amdhsa_system_sgpr_private_segment_wavefront_offset 0
		.amdhsa_system_sgpr_workgroup_id_x 1
		.amdhsa_system_sgpr_workgroup_id_y 0
		.amdhsa_system_sgpr_workgroup_id_z 0
		.amdhsa_system_sgpr_workgroup_info 0
		.amdhsa_system_vgpr_workitem_id 0
		.amdhsa_next_free_vgpr 1
		.amdhsa_next_free_sgpr 1
		.amdhsa_reserve_vcc 0
		.amdhsa_reserve_flat_scratch 0
		.amdhsa_float_round_mode_32 0
		.amdhsa_float_round_mode_16_64 0
		.amdhsa_float_denorm_mode_32 3
		.amdhsa_float_denorm_mode_16_64 3
		.amdhsa_dx10_clamp 1
		.amdhsa_ieee_mode 1
		.amdhsa_fp16_overflow 0
		.amdhsa_workgroup_processor_mode 1
		.amdhsa_memory_ordered 1
		.amdhsa_forward_progress 1
		.amdhsa_shared_vgpr_count 0
		.amdhsa_exception_fp_ieee_invalid_op 0
		.amdhsa_exception_fp_denorm_src 0
		.amdhsa_exception_fp_ieee_div_zero 0
		.amdhsa_exception_fp_ieee_overflow 0
		.amdhsa_exception_fp_ieee_underflow 0
		.amdhsa_exception_fp_ieee_inexact 0
		.amdhsa_exception_int_div_zero 0
	.end_amdhsa_kernel
	.section	.text._ZN7rocprim17ROCPRIM_400000_NS6detail17trampoline_kernelINS0_14default_configENS1_22reduce_config_selectorIfEEZNS1_11reduce_implILb1ES3_PfS7_fN6thrust23THRUST_200600_302600_NS4plusIfEEEE10hipError_tPvRmT1_T2_T3_mT4_P12ihipStream_tbEUlT_E0_NS1_11comp_targetILNS1_3genE10ELNS1_11target_archE1200ELNS1_3gpuE4ELNS1_3repE0EEENS1_30default_config_static_selectorELNS0_4arch9wavefront6targetE0EEEvSF_,"axG",@progbits,_ZN7rocprim17ROCPRIM_400000_NS6detail17trampoline_kernelINS0_14default_configENS1_22reduce_config_selectorIfEEZNS1_11reduce_implILb1ES3_PfS7_fN6thrust23THRUST_200600_302600_NS4plusIfEEEE10hipError_tPvRmT1_T2_T3_mT4_P12ihipStream_tbEUlT_E0_NS1_11comp_targetILNS1_3genE10ELNS1_11target_archE1200ELNS1_3gpuE4ELNS1_3repE0EEENS1_30default_config_static_selectorELNS0_4arch9wavefront6targetE0EEEvSF_,comdat
.Lfunc_end6:
	.size	_ZN7rocprim17ROCPRIM_400000_NS6detail17trampoline_kernelINS0_14default_configENS1_22reduce_config_selectorIfEEZNS1_11reduce_implILb1ES3_PfS7_fN6thrust23THRUST_200600_302600_NS4plusIfEEEE10hipError_tPvRmT1_T2_T3_mT4_P12ihipStream_tbEUlT_E0_NS1_11comp_targetILNS1_3genE10ELNS1_11target_archE1200ELNS1_3gpuE4ELNS1_3repE0EEENS1_30default_config_static_selectorELNS0_4arch9wavefront6targetE0EEEvSF_, .Lfunc_end6-_ZN7rocprim17ROCPRIM_400000_NS6detail17trampoline_kernelINS0_14default_configENS1_22reduce_config_selectorIfEEZNS1_11reduce_implILb1ES3_PfS7_fN6thrust23THRUST_200600_302600_NS4plusIfEEEE10hipError_tPvRmT1_T2_T3_mT4_P12ihipStream_tbEUlT_E0_NS1_11comp_targetILNS1_3genE10ELNS1_11target_archE1200ELNS1_3gpuE4ELNS1_3repE0EEENS1_30default_config_static_selectorELNS0_4arch9wavefront6targetE0EEEvSF_
                                        ; -- End function
	.set _ZN7rocprim17ROCPRIM_400000_NS6detail17trampoline_kernelINS0_14default_configENS1_22reduce_config_selectorIfEEZNS1_11reduce_implILb1ES3_PfS7_fN6thrust23THRUST_200600_302600_NS4plusIfEEEE10hipError_tPvRmT1_T2_T3_mT4_P12ihipStream_tbEUlT_E0_NS1_11comp_targetILNS1_3genE10ELNS1_11target_archE1200ELNS1_3gpuE4ELNS1_3repE0EEENS1_30default_config_static_selectorELNS0_4arch9wavefront6targetE0EEEvSF_.num_vgpr, 0
	.set _ZN7rocprim17ROCPRIM_400000_NS6detail17trampoline_kernelINS0_14default_configENS1_22reduce_config_selectorIfEEZNS1_11reduce_implILb1ES3_PfS7_fN6thrust23THRUST_200600_302600_NS4plusIfEEEE10hipError_tPvRmT1_T2_T3_mT4_P12ihipStream_tbEUlT_E0_NS1_11comp_targetILNS1_3genE10ELNS1_11target_archE1200ELNS1_3gpuE4ELNS1_3repE0EEENS1_30default_config_static_selectorELNS0_4arch9wavefront6targetE0EEEvSF_.num_agpr, 0
	.set _ZN7rocprim17ROCPRIM_400000_NS6detail17trampoline_kernelINS0_14default_configENS1_22reduce_config_selectorIfEEZNS1_11reduce_implILb1ES3_PfS7_fN6thrust23THRUST_200600_302600_NS4plusIfEEEE10hipError_tPvRmT1_T2_T3_mT4_P12ihipStream_tbEUlT_E0_NS1_11comp_targetILNS1_3genE10ELNS1_11target_archE1200ELNS1_3gpuE4ELNS1_3repE0EEENS1_30default_config_static_selectorELNS0_4arch9wavefront6targetE0EEEvSF_.numbered_sgpr, 0
	.set _ZN7rocprim17ROCPRIM_400000_NS6detail17trampoline_kernelINS0_14default_configENS1_22reduce_config_selectorIfEEZNS1_11reduce_implILb1ES3_PfS7_fN6thrust23THRUST_200600_302600_NS4plusIfEEEE10hipError_tPvRmT1_T2_T3_mT4_P12ihipStream_tbEUlT_E0_NS1_11comp_targetILNS1_3genE10ELNS1_11target_archE1200ELNS1_3gpuE4ELNS1_3repE0EEENS1_30default_config_static_selectorELNS0_4arch9wavefront6targetE0EEEvSF_.num_named_barrier, 0
	.set _ZN7rocprim17ROCPRIM_400000_NS6detail17trampoline_kernelINS0_14default_configENS1_22reduce_config_selectorIfEEZNS1_11reduce_implILb1ES3_PfS7_fN6thrust23THRUST_200600_302600_NS4plusIfEEEE10hipError_tPvRmT1_T2_T3_mT4_P12ihipStream_tbEUlT_E0_NS1_11comp_targetILNS1_3genE10ELNS1_11target_archE1200ELNS1_3gpuE4ELNS1_3repE0EEENS1_30default_config_static_selectorELNS0_4arch9wavefront6targetE0EEEvSF_.private_seg_size, 0
	.set _ZN7rocprim17ROCPRIM_400000_NS6detail17trampoline_kernelINS0_14default_configENS1_22reduce_config_selectorIfEEZNS1_11reduce_implILb1ES3_PfS7_fN6thrust23THRUST_200600_302600_NS4plusIfEEEE10hipError_tPvRmT1_T2_T3_mT4_P12ihipStream_tbEUlT_E0_NS1_11comp_targetILNS1_3genE10ELNS1_11target_archE1200ELNS1_3gpuE4ELNS1_3repE0EEENS1_30default_config_static_selectorELNS0_4arch9wavefront6targetE0EEEvSF_.uses_vcc, 0
	.set _ZN7rocprim17ROCPRIM_400000_NS6detail17trampoline_kernelINS0_14default_configENS1_22reduce_config_selectorIfEEZNS1_11reduce_implILb1ES3_PfS7_fN6thrust23THRUST_200600_302600_NS4plusIfEEEE10hipError_tPvRmT1_T2_T3_mT4_P12ihipStream_tbEUlT_E0_NS1_11comp_targetILNS1_3genE10ELNS1_11target_archE1200ELNS1_3gpuE4ELNS1_3repE0EEENS1_30default_config_static_selectorELNS0_4arch9wavefront6targetE0EEEvSF_.uses_flat_scratch, 0
	.set _ZN7rocprim17ROCPRIM_400000_NS6detail17trampoline_kernelINS0_14default_configENS1_22reduce_config_selectorIfEEZNS1_11reduce_implILb1ES3_PfS7_fN6thrust23THRUST_200600_302600_NS4plusIfEEEE10hipError_tPvRmT1_T2_T3_mT4_P12ihipStream_tbEUlT_E0_NS1_11comp_targetILNS1_3genE10ELNS1_11target_archE1200ELNS1_3gpuE4ELNS1_3repE0EEENS1_30default_config_static_selectorELNS0_4arch9wavefront6targetE0EEEvSF_.has_dyn_sized_stack, 0
	.set _ZN7rocprim17ROCPRIM_400000_NS6detail17trampoline_kernelINS0_14default_configENS1_22reduce_config_selectorIfEEZNS1_11reduce_implILb1ES3_PfS7_fN6thrust23THRUST_200600_302600_NS4plusIfEEEE10hipError_tPvRmT1_T2_T3_mT4_P12ihipStream_tbEUlT_E0_NS1_11comp_targetILNS1_3genE10ELNS1_11target_archE1200ELNS1_3gpuE4ELNS1_3repE0EEENS1_30default_config_static_selectorELNS0_4arch9wavefront6targetE0EEEvSF_.has_recursion, 0
	.set _ZN7rocprim17ROCPRIM_400000_NS6detail17trampoline_kernelINS0_14default_configENS1_22reduce_config_selectorIfEEZNS1_11reduce_implILb1ES3_PfS7_fN6thrust23THRUST_200600_302600_NS4plusIfEEEE10hipError_tPvRmT1_T2_T3_mT4_P12ihipStream_tbEUlT_E0_NS1_11comp_targetILNS1_3genE10ELNS1_11target_archE1200ELNS1_3gpuE4ELNS1_3repE0EEENS1_30default_config_static_selectorELNS0_4arch9wavefront6targetE0EEEvSF_.has_indirect_call, 0
	.section	.AMDGPU.csdata,"",@progbits
; Kernel info:
; codeLenInByte = 0
; TotalNumSgprs: 0
; NumVgprs: 0
; ScratchSize: 0
; MemoryBound: 0
; FloatMode: 240
; IeeeMode: 1
; LDSByteSize: 0 bytes/workgroup (compile time only)
; SGPRBlocks: 0
; VGPRBlocks: 0
; NumSGPRsForWavesPerEU: 1
; NumVGPRsForWavesPerEU: 1
; Occupancy: 16
; WaveLimiterHint : 0
; COMPUTE_PGM_RSRC2:SCRATCH_EN: 0
; COMPUTE_PGM_RSRC2:USER_SGPR: 6
; COMPUTE_PGM_RSRC2:TRAP_HANDLER: 0
; COMPUTE_PGM_RSRC2:TGID_X_EN: 1
; COMPUTE_PGM_RSRC2:TGID_Y_EN: 0
; COMPUTE_PGM_RSRC2:TGID_Z_EN: 0
; COMPUTE_PGM_RSRC2:TIDIG_COMP_CNT: 0
	.section	.text._ZN7rocprim17ROCPRIM_400000_NS6detail17trampoline_kernelINS0_14default_configENS1_22reduce_config_selectorIfEEZNS1_11reduce_implILb1ES3_PfS7_fN6thrust23THRUST_200600_302600_NS4plusIfEEEE10hipError_tPvRmT1_T2_T3_mT4_P12ihipStream_tbEUlT_E0_NS1_11comp_targetILNS1_3genE9ELNS1_11target_archE1100ELNS1_3gpuE3ELNS1_3repE0EEENS1_30default_config_static_selectorELNS0_4arch9wavefront6targetE0EEEvSF_,"axG",@progbits,_ZN7rocprim17ROCPRIM_400000_NS6detail17trampoline_kernelINS0_14default_configENS1_22reduce_config_selectorIfEEZNS1_11reduce_implILb1ES3_PfS7_fN6thrust23THRUST_200600_302600_NS4plusIfEEEE10hipError_tPvRmT1_T2_T3_mT4_P12ihipStream_tbEUlT_E0_NS1_11comp_targetILNS1_3genE9ELNS1_11target_archE1100ELNS1_3gpuE3ELNS1_3repE0EEENS1_30default_config_static_selectorELNS0_4arch9wavefront6targetE0EEEvSF_,comdat
	.protected	_ZN7rocprim17ROCPRIM_400000_NS6detail17trampoline_kernelINS0_14default_configENS1_22reduce_config_selectorIfEEZNS1_11reduce_implILb1ES3_PfS7_fN6thrust23THRUST_200600_302600_NS4plusIfEEEE10hipError_tPvRmT1_T2_T3_mT4_P12ihipStream_tbEUlT_E0_NS1_11comp_targetILNS1_3genE9ELNS1_11target_archE1100ELNS1_3gpuE3ELNS1_3repE0EEENS1_30default_config_static_selectorELNS0_4arch9wavefront6targetE0EEEvSF_ ; -- Begin function _ZN7rocprim17ROCPRIM_400000_NS6detail17trampoline_kernelINS0_14default_configENS1_22reduce_config_selectorIfEEZNS1_11reduce_implILb1ES3_PfS7_fN6thrust23THRUST_200600_302600_NS4plusIfEEEE10hipError_tPvRmT1_T2_T3_mT4_P12ihipStream_tbEUlT_E0_NS1_11comp_targetILNS1_3genE9ELNS1_11target_archE1100ELNS1_3gpuE3ELNS1_3repE0EEENS1_30default_config_static_selectorELNS0_4arch9wavefront6targetE0EEEvSF_
	.globl	_ZN7rocprim17ROCPRIM_400000_NS6detail17trampoline_kernelINS0_14default_configENS1_22reduce_config_selectorIfEEZNS1_11reduce_implILb1ES3_PfS7_fN6thrust23THRUST_200600_302600_NS4plusIfEEEE10hipError_tPvRmT1_T2_T3_mT4_P12ihipStream_tbEUlT_E0_NS1_11comp_targetILNS1_3genE9ELNS1_11target_archE1100ELNS1_3gpuE3ELNS1_3repE0EEENS1_30default_config_static_selectorELNS0_4arch9wavefront6targetE0EEEvSF_
	.p2align	8
	.type	_ZN7rocprim17ROCPRIM_400000_NS6detail17trampoline_kernelINS0_14default_configENS1_22reduce_config_selectorIfEEZNS1_11reduce_implILb1ES3_PfS7_fN6thrust23THRUST_200600_302600_NS4plusIfEEEE10hipError_tPvRmT1_T2_T3_mT4_P12ihipStream_tbEUlT_E0_NS1_11comp_targetILNS1_3genE9ELNS1_11target_archE1100ELNS1_3gpuE3ELNS1_3repE0EEENS1_30default_config_static_selectorELNS0_4arch9wavefront6targetE0EEEvSF_,@function
_ZN7rocprim17ROCPRIM_400000_NS6detail17trampoline_kernelINS0_14default_configENS1_22reduce_config_selectorIfEEZNS1_11reduce_implILb1ES3_PfS7_fN6thrust23THRUST_200600_302600_NS4plusIfEEEE10hipError_tPvRmT1_T2_T3_mT4_P12ihipStream_tbEUlT_E0_NS1_11comp_targetILNS1_3genE9ELNS1_11target_archE1100ELNS1_3gpuE3ELNS1_3repE0EEENS1_30default_config_static_selectorELNS0_4arch9wavefront6targetE0EEEvSF_: ; @_ZN7rocprim17ROCPRIM_400000_NS6detail17trampoline_kernelINS0_14default_configENS1_22reduce_config_selectorIfEEZNS1_11reduce_implILb1ES3_PfS7_fN6thrust23THRUST_200600_302600_NS4plusIfEEEE10hipError_tPvRmT1_T2_T3_mT4_P12ihipStream_tbEUlT_E0_NS1_11comp_targetILNS1_3genE9ELNS1_11target_archE1100ELNS1_3gpuE3ELNS1_3repE0EEENS1_30default_config_static_selectorELNS0_4arch9wavefront6targetE0EEEvSF_
; %bb.0:
	.section	.rodata,"a",@progbits
	.p2align	6, 0x0
	.amdhsa_kernel _ZN7rocprim17ROCPRIM_400000_NS6detail17trampoline_kernelINS0_14default_configENS1_22reduce_config_selectorIfEEZNS1_11reduce_implILb1ES3_PfS7_fN6thrust23THRUST_200600_302600_NS4plusIfEEEE10hipError_tPvRmT1_T2_T3_mT4_P12ihipStream_tbEUlT_E0_NS1_11comp_targetILNS1_3genE9ELNS1_11target_archE1100ELNS1_3gpuE3ELNS1_3repE0EEENS1_30default_config_static_selectorELNS0_4arch9wavefront6targetE0EEEvSF_
		.amdhsa_group_segment_fixed_size 0
		.amdhsa_private_segment_fixed_size 0
		.amdhsa_kernarg_size 56
		.amdhsa_user_sgpr_count 6
		.amdhsa_user_sgpr_private_segment_buffer 1
		.amdhsa_user_sgpr_dispatch_ptr 0
		.amdhsa_user_sgpr_queue_ptr 0
		.amdhsa_user_sgpr_kernarg_segment_ptr 1
		.amdhsa_user_sgpr_dispatch_id 0
		.amdhsa_user_sgpr_flat_scratch_init 0
		.amdhsa_user_sgpr_private_segment_size 0
		.amdhsa_wavefront_size32 1
		.amdhsa_uses_dynamic_stack 0
		.amdhsa_system_sgpr_private_segment_wavefront_offset 0
		.amdhsa_system_sgpr_workgroup_id_x 1
		.amdhsa_system_sgpr_workgroup_id_y 0
		.amdhsa_system_sgpr_workgroup_id_z 0
		.amdhsa_system_sgpr_workgroup_info 0
		.amdhsa_system_vgpr_workitem_id 0
		.amdhsa_next_free_vgpr 1
		.amdhsa_next_free_sgpr 1
		.amdhsa_reserve_vcc 0
		.amdhsa_reserve_flat_scratch 0
		.amdhsa_float_round_mode_32 0
		.amdhsa_float_round_mode_16_64 0
		.amdhsa_float_denorm_mode_32 3
		.amdhsa_float_denorm_mode_16_64 3
		.amdhsa_dx10_clamp 1
		.amdhsa_ieee_mode 1
		.amdhsa_fp16_overflow 0
		.amdhsa_workgroup_processor_mode 1
		.amdhsa_memory_ordered 1
		.amdhsa_forward_progress 1
		.amdhsa_shared_vgpr_count 0
		.amdhsa_exception_fp_ieee_invalid_op 0
		.amdhsa_exception_fp_denorm_src 0
		.amdhsa_exception_fp_ieee_div_zero 0
		.amdhsa_exception_fp_ieee_overflow 0
		.amdhsa_exception_fp_ieee_underflow 0
		.amdhsa_exception_fp_ieee_inexact 0
		.amdhsa_exception_int_div_zero 0
	.end_amdhsa_kernel
	.section	.text._ZN7rocprim17ROCPRIM_400000_NS6detail17trampoline_kernelINS0_14default_configENS1_22reduce_config_selectorIfEEZNS1_11reduce_implILb1ES3_PfS7_fN6thrust23THRUST_200600_302600_NS4plusIfEEEE10hipError_tPvRmT1_T2_T3_mT4_P12ihipStream_tbEUlT_E0_NS1_11comp_targetILNS1_3genE9ELNS1_11target_archE1100ELNS1_3gpuE3ELNS1_3repE0EEENS1_30default_config_static_selectorELNS0_4arch9wavefront6targetE0EEEvSF_,"axG",@progbits,_ZN7rocprim17ROCPRIM_400000_NS6detail17trampoline_kernelINS0_14default_configENS1_22reduce_config_selectorIfEEZNS1_11reduce_implILb1ES3_PfS7_fN6thrust23THRUST_200600_302600_NS4plusIfEEEE10hipError_tPvRmT1_T2_T3_mT4_P12ihipStream_tbEUlT_E0_NS1_11comp_targetILNS1_3genE9ELNS1_11target_archE1100ELNS1_3gpuE3ELNS1_3repE0EEENS1_30default_config_static_selectorELNS0_4arch9wavefront6targetE0EEEvSF_,comdat
.Lfunc_end7:
	.size	_ZN7rocprim17ROCPRIM_400000_NS6detail17trampoline_kernelINS0_14default_configENS1_22reduce_config_selectorIfEEZNS1_11reduce_implILb1ES3_PfS7_fN6thrust23THRUST_200600_302600_NS4plusIfEEEE10hipError_tPvRmT1_T2_T3_mT4_P12ihipStream_tbEUlT_E0_NS1_11comp_targetILNS1_3genE9ELNS1_11target_archE1100ELNS1_3gpuE3ELNS1_3repE0EEENS1_30default_config_static_selectorELNS0_4arch9wavefront6targetE0EEEvSF_, .Lfunc_end7-_ZN7rocprim17ROCPRIM_400000_NS6detail17trampoline_kernelINS0_14default_configENS1_22reduce_config_selectorIfEEZNS1_11reduce_implILb1ES3_PfS7_fN6thrust23THRUST_200600_302600_NS4plusIfEEEE10hipError_tPvRmT1_T2_T3_mT4_P12ihipStream_tbEUlT_E0_NS1_11comp_targetILNS1_3genE9ELNS1_11target_archE1100ELNS1_3gpuE3ELNS1_3repE0EEENS1_30default_config_static_selectorELNS0_4arch9wavefront6targetE0EEEvSF_
                                        ; -- End function
	.set _ZN7rocprim17ROCPRIM_400000_NS6detail17trampoline_kernelINS0_14default_configENS1_22reduce_config_selectorIfEEZNS1_11reduce_implILb1ES3_PfS7_fN6thrust23THRUST_200600_302600_NS4plusIfEEEE10hipError_tPvRmT1_T2_T3_mT4_P12ihipStream_tbEUlT_E0_NS1_11comp_targetILNS1_3genE9ELNS1_11target_archE1100ELNS1_3gpuE3ELNS1_3repE0EEENS1_30default_config_static_selectorELNS0_4arch9wavefront6targetE0EEEvSF_.num_vgpr, 0
	.set _ZN7rocprim17ROCPRIM_400000_NS6detail17trampoline_kernelINS0_14default_configENS1_22reduce_config_selectorIfEEZNS1_11reduce_implILb1ES3_PfS7_fN6thrust23THRUST_200600_302600_NS4plusIfEEEE10hipError_tPvRmT1_T2_T3_mT4_P12ihipStream_tbEUlT_E0_NS1_11comp_targetILNS1_3genE9ELNS1_11target_archE1100ELNS1_3gpuE3ELNS1_3repE0EEENS1_30default_config_static_selectorELNS0_4arch9wavefront6targetE0EEEvSF_.num_agpr, 0
	.set _ZN7rocprim17ROCPRIM_400000_NS6detail17trampoline_kernelINS0_14default_configENS1_22reduce_config_selectorIfEEZNS1_11reduce_implILb1ES3_PfS7_fN6thrust23THRUST_200600_302600_NS4plusIfEEEE10hipError_tPvRmT1_T2_T3_mT4_P12ihipStream_tbEUlT_E0_NS1_11comp_targetILNS1_3genE9ELNS1_11target_archE1100ELNS1_3gpuE3ELNS1_3repE0EEENS1_30default_config_static_selectorELNS0_4arch9wavefront6targetE0EEEvSF_.numbered_sgpr, 0
	.set _ZN7rocprim17ROCPRIM_400000_NS6detail17trampoline_kernelINS0_14default_configENS1_22reduce_config_selectorIfEEZNS1_11reduce_implILb1ES3_PfS7_fN6thrust23THRUST_200600_302600_NS4plusIfEEEE10hipError_tPvRmT1_T2_T3_mT4_P12ihipStream_tbEUlT_E0_NS1_11comp_targetILNS1_3genE9ELNS1_11target_archE1100ELNS1_3gpuE3ELNS1_3repE0EEENS1_30default_config_static_selectorELNS0_4arch9wavefront6targetE0EEEvSF_.num_named_barrier, 0
	.set _ZN7rocprim17ROCPRIM_400000_NS6detail17trampoline_kernelINS0_14default_configENS1_22reduce_config_selectorIfEEZNS1_11reduce_implILb1ES3_PfS7_fN6thrust23THRUST_200600_302600_NS4plusIfEEEE10hipError_tPvRmT1_T2_T3_mT4_P12ihipStream_tbEUlT_E0_NS1_11comp_targetILNS1_3genE9ELNS1_11target_archE1100ELNS1_3gpuE3ELNS1_3repE0EEENS1_30default_config_static_selectorELNS0_4arch9wavefront6targetE0EEEvSF_.private_seg_size, 0
	.set _ZN7rocprim17ROCPRIM_400000_NS6detail17trampoline_kernelINS0_14default_configENS1_22reduce_config_selectorIfEEZNS1_11reduce_implILb1ES3_PfS7_fN6thrust23THRUST_200600_302600_NS4plusIfEEEE10hipError_tPvRmT1_T2_T3_mT4_P12ihipStream_tbEUlT_E0_NS1_11comp_targetILNS1_3genE9ELNS1_11target_archE1100ELNS1_3gpuE3ELNS1_3repE0EEENS1_30default_config_static_selectorELNS0_4arch9wavefront6targetE0EEEvSF_.uses_vcc, 0
	.set _ZN7rocprim17ROCPRIM_400000_NS6detail17trampoline_kernelINS0_14default_configENS1_22reduce_config_selectorIfEEZNS1_11reduce_implILb1ES3_PfS7_fN6thrust23THRUST_200600_302600_NS4plusIfEEEE10hipError_tPvRmT1_T2_T3_mT4_P12ihipStream_tbEUlT_E0_NS1_11comp_targetILNS1_3genE9ELNS1_11target_archE1100ELNS1_3gpuE3ELNS1_3repE0EEENS1_30default_config_static_selectorELNS0_4arch9wavefront6targetE0EEEvSF_.uses_flat_scratch, 0
	.set _ZN7rocprim17ROCPRIM_400000_NS6detail17trampoline_kernelINS0_14default_configENS1_22reduce_config_selectorIfEEZNS1_11reduce_implILb1ES3_PfS7_fN6thrust23THRUST_200600_302600_NS4plusIfEEEE10hipError_tPvRmT1_T2_T3_mT4_P12ihipStream_tbEUlT_E0_NS1_11comp_targetILNS1_3genE9ELNS1_11target_archE1100ELNS1_3gpuE3ELNS1_3repE0EEENS1_30default_config_static_selectorELNS0_4arch9wavefront6targetE0EEEvSF_.has_dyn_sized_stack, 0
	.set _ZN7rocprim17ROCPRIM_400000_NS6detail17trampoline_kernelINS0_14default_configENS1_22reduce_config_selectorIfEEZNS1_11reduce_implILb1ES3_PfS7_fN6thrust23THRUST_200600_302600_NS4plusIfEEEE10hipError_tPvRmT1_T2_T3_mT4_P12ihipStream_tbEUlT_E0_NS1_11comp_targetILNS1_3genE9ELNS1_11target_archE1100ELNS1_3gpuE3ELNS1_3repE0EEENS1_30default_config_static_selectorELNS0_4arch9wavefront6targetE0EEEvSF_.has_recursion, 0
	.set _ZN7rocprim17ROCPRIM_400000_NS6detail17trampoline_kernelINS0_14default_configENS1_22reduce_config_selectorIfEEZNS1_11reduce_implILb1ES3_PfS7_fN6thrust23THRUST_200600_302600_NS4plusIfEEEE10hipError_tPvRmT1_T2_T3_mT4_P12ihipStream_tbEUlT_E0_NS1_11comp_targetILNS1_3genE9ELNS1_11target_archE1100ELNS1_3gpuE3ELNS1_3repE0EEENS1_30default_config_static_selectorELNS0_4arch9wavefront6targetE0EEEvSF_.has_indirect_call, 0
	.section	.AMDGPU.csdata,"",@progbits
; Kernel info:
; codeLenInByte = 0
; TotalNumSgprs: 0
; NumVgprs: 0
; ScratchSize: 0
; MemoryBound: 0
; FloatMode: 240
; IeeeMode: 1
; LDSByteSize: 0 bytes/workgroup (compile time only)
; SGPRBlocks: 0
; VGPRBlocks: 0
; NumSGPRsForWavesPerEU: 1
; NumVGPRsForWavesPerEU: 1
; Occupancy: 16
; WaveLimiterHint : 0
; COMPUTE_PGM_RSRC2:SCRATCH_EN: 0
; COMPUTE_PGM_RSRC2:USER_SGPR: 6
; COMPUTE_PGM_RSRC2:TRAP_HANDLER: 0
; COMPUTE_PGM_RSRC2:TGID_X_EN: 1
; COMPUTE_PGM_RSRC2:TGID_Y_EN: 0
; COMPUTE_PGM_RSRC2:TGID_Z_EN: 0
; COMPUTE_PGM_RSRC2:TIDIG_COMP_CNT: 0
	.section	.text._ZN7rocprim17ROCPRIM_400000_NS6detail17trampoline_kernelINS0_14default_configENS1_22reduce_config_selectorIfEEZNS1_11reduce_implILb1ES3_PfS7_fN6thrust23THRUST_200600_302600_NS4plusIfEEEE10hipError_tPvRmT1_T2_T3_mT4_P12ihipStream_tbEUlT_E0_NS1_11comp_targetILNS1_3genE8ELNS1_11target_archE1030ELNS1_3gpuE2ELNS1_3repE0EEENS1_30default_config_static_selectorELNS0_4arch9wavefront6targetE0EEEvSF_,"axG",@progbits,_ZN7rocprim17ROCPRIM_400000_NS6detail17trampoline_kernelINS0_14default_configENS1_22reduce_config_selectorIfEEZNS1_11reduce_implILb1ES3_PfS7_fN6thrust23THRUST_200600_302600_NS4plusIfEEEE10hipError_tPvRmT1_T2_T3_mT4_P12ihipStream_tbEUlT_E0_NS1_11comp_targetILNS1_3genE8ELNS1_11target_archE1030ELNS1_3gpuE2ELNS1_3repE0EEENS1_30default_config_static_selectorELNS0_4arch9wavefront6targetE0EEEvSF_,comdat
	.protected	_ZN7rocprim17ROCPRIM_400000_NS6detail17trampoline_kernelINS0_14default_configENS1_22reduce_config_selectorIfEEZNS1_11reduce_implILb1ES3_PfS7_fN6thrust23THRUST_200600_302600_NS4plusIfEEEE10hipError_tPvRmT1_T2_T3_mT4_P12ihipStream_tbEUlT_E0_NS1_11comp_targetILNS1_3genE8ELNS1_11target_archE1030ELNS1_3gpuE2ELNS1_3repE0EEENS1_30default_config_static_selectorELNS0_4arch9wavefront6targetE0EEEvSF_ ; -- Begin function _ZN7rocprim17ROCPRIM_400000_NS6detail17trampoline_kernelINS0_14default_configENS1_22reduce_config_selectorIfEEZNS1_11reduce_implILb1ES3_PfS7_fN6thrust23THRUST_200600_302600_NS4plusIfEEEE10hipError_tPvRmT1_T2_T3_mT4_P12ihipStream_tbEUlT_E0_NS1_11comp_targetILNS1_3genE8ELNS1_11target_archE1030ELNS1_3gpuE2ELNS1_3repE0EEENS1_30default_config_static_selectorELNS0_4arch9wavefront6targetE0EEEvSF_
	.globl	_ZN7rocprim17ROCPRIM_400000_NS6detail17trampoline_kernelINS0_14default_configENS1_22reduce_config_selectorIfEEZNS1_11reduce_implILb1ES3_PfS7_fN6thrust23THRUST_200600_302600_NS4plusIfEEEE10hipError_tPvRmT1_T2_T3_mT4_P12ihipStream_tbEUlT_E0_NS1_11comp_targetILNS1_3genE8ELNS1_11target_archE1030ELNS1_3gpuE2ELNS1_3repE0EEENS1_30default_config_static_selectorELNS0_4arch9wavefront6targetE0EEEvSF_
	.p2align	8
	.type	_ZN7rocprim17ROCPRIM_400000_NS6detail17trampoline_kernelINS0_14default_configENS1_22reduce_config_selectorIfEEZNS1_11reduce_implILb1ES3_PfS7_fN6thrust23THRUST_200600_302600_NS4plusIfEEEE10hipError_tPvRmT1_T2_T3_mT4_P12ihipStream_tbEUlT_E0_NS1_11comp_targetILNS1_3genE8ELNS1_11target_archE1030ELNS1_3gpuE2ELNS1_3repE0EEENS1_30default_config_static_selectorELNS0_4arch9wavefront6targetE0EEEvSF_,@function
_ZN7rocprim17ROCPRIM_400000_NS6detail17trampoline_kernelINS0_14default_configENS1_22reduce_config_selectorIfEEZNS1_11reduce_implILb1ES3_PfS7_fN6thrust23THRUST_200600_302600_NS4plusIfEEEE10hipError_tPvRmT1_T2_T3_mT4_P12ihipStream_tbEUlT_E0_NS1_11comp_targetILNS1_3genE8ELNS1_11target_archE1030ELNS1_3gpuE2ELNS1_3repE0EEENS1_30default_config_static_selectorELNS0_4arch9wavefront6targetE0EEEvSF_: ; @_ZN7rocprim17ROCPRIM_400000_NS6detail17trampoline_kernelINS0_14default_configENS1_22reduce_config_selectorIfEEZNS1_11reduce_implILb1ES3_PfS7_fN6thrust23THRUST_200600_302600_NS4plusIfEEEE10hipError_tPvRmT1_T2_T3_mT4_P12ihipStream_tbEUlT_E0_NS1_11comp_targetILNS1_3genE8ELNS1_11target_archE1030ELNS1_3gpuE2ELNS1_3repE0EEENS1_30default_config_static_selectorELNS0_4arch9wavefront6targetE0EEEvSF_
; %bb.0:
	s_clause 0x1
	s_load_dwordx8 s[8:15], s[4:5], 0x0
	s_load_dwordx4 s[16:19], s[4:5], 0x20
	s_mov_b32 s3, 0
	v_lshlrev_b32_e32 v4, 2, v0
	v_mbcnt_lo_u32_b32 v3, -1, 0
	s_mov_b32 s7, s3
	s_waitcnt lgkmcnt(0)
	s_lshl_b64 s[0:1], s[10:11], 2
	s_add_u32 s10, s8, s0
	s_addc_u32 s11, s9, s1
	s_lshl_b32 s2, s6, 9
	s_lshr_b64 s[8:9], s[12:13], 9
	s_lshl_b64 s[0:1], s[2:3], 2
	s_add_u32 s0, s10, s0
	s_addc_u32 s1, s11, s1
	s_cmp_lg_u64 s[8:9], s[6:7]
	s_cbranch_scc0 .LBB8_6
; %bb.1:
	s_clause 0x1
	global_load_dword v1, v4, s[0:1]
	global_load_dword v2, v4, s[0:1] offset:1024
	s_mov_b32 s3, exec_lo
	s_waitcnt vmcnt(0)
	v_add_f32_e32 v1, v1, v2
	v_mov_b32_dpp v2, v1 quad_perm:[1,0,3,2] row_mask:0xf bank_mask:0xf
	v_add_f32_e32 v1, v1, v2
	v_mov_b32_dpp v2, v1 quad_perm:[2,3,0,1] row_mask:0xf bank_mask:0xf
	v_add_f32_e32 v1, v1, v2
	v_mov_b32_dpp v2, v1 row_ror:4 row_mask:0xf bank_mask:0xf
	v_add_f32_e32 v1, v1, v2
	v_mov_b32_dpp v2, v1 row_ror:8 row_mask:0xf bank_mask:0xf
	v_add_f32_e32 v1, v1, v2
	ds_swizzle_b32 v2, v1 offset:swizzle(BROADCAST,32,15)
	s_waitcnt lgkmcnt(0)
	v_add_f32_e32 v1, v1, v2
	v_mov_b32_e32 v2, 0
	ds_bpermute_b32 v1, v2, v1 offset:124
	v_cmpx_eq_u32_e32 0, v3
	s_cbranch_execz .LBB8_3
; %bb.2:
	v_lshrrev_b32_e32 v2, 3, v0
	v_and_b32_e32 v2, 28, v2
	s_waitcnt lgkmcnt(0)
	ds_write_b32 v2, v1
.LBB8_3:
	s_or_b32 exec_lo, exec_lo, s3
	s_mov_b32 s3, exec_lo
	s_waitcnt lgkmcnt(0)
	s_barrier
	buffer_gl0_inv
	v_cmpx_gt_u32_e32 32, v0
	s_cbranch_execz .LBB8_5
; %bb.4:
	v_and_b32_e32 v1, 7, v3
	v_lshlrev_b32_e32 v2, 2, v1
	v_cmp_ne_u32_e32 vcc_lo, 7, v1
	ds_read_b32 v2, v2
	v_add_co_ci_u32_e64 v5, null, 0, v3, vcc_lo
	v_cmp_gt_u32_e32 vcc_lo, 6, v1
	v_lshlrev_b32_e32 v5, 2, v5
	v_cndmask_b32_e64 v1, 0, 2, vcc_lo
	v_add_lshl_u32 v1, v1, v3, 2
	s_waitcnt lgkmcnt(0)
	ds_bpermute_b32 v5, v5, v2
	s_waitcnt lgkmcnt(0)
	v_add_f32_e32 v2, v2, v5
	v_lshlrev_b32_e32 v5, 2, v3
	ds_bpermute_b32 v1, v1, v2
	s_waitcnt lgkmcnt(0)
	v_add_f32_e32 v1, v2, v1
	v_or_b32_e32 v2, 16, v5
	ds_bpermute_b32 v2, v2, v1
	s_waitcnt lgkmcnt(0)
	v_add_f32_e32 v1, v1, v2
.LBB8_5:
	s_or_b32 exec_lo, exec_lo, s3
	s_branch .LBB8_16
.LBB8_6:
                                        ; implicit-def: $vgpr1
	s_cbranch_execz .LBB8_16
; %bb.7:
	v_mov_b32_e32 v1, 0
	s_sub_i32 s2, s12, s2
	s_mov_b32 s3, exec_lo
	v_mov_b32_e32 v2, v1
	v_cmpx_gt_u32_e64 s2, v0
	s_cbranch_execz .LBB8_9
; %bb.8:
	global_load_dword v5, v4, s[0:1]
	v_mov_b32_e32 v6, v1
	s_waitcnt vmcnt(0)
	v_mov_b32_e32 v1, v5
	v_mov_b32_e32 v2, v6
.LBB8_9:
	s_or_b32 exec_lo, exec_lo, s3
	v_or_b32_e32 v5, 0x100, v0
	v_cmp_gt_u32_e32 vcc_lo, s2, v5
	s_and_saveexec_b32 s3, vcc_lo
	s_cbranch_execz .LBB8_11
; %bb.10:
	global_load_dword v2, v4, s[0:1] offset:1024
.LBB8_11:
	s_or_b32 exec_lo, exec_lo, s3
	v_cmp_ne_u32_e64 s0, 31, v3
	s_waitcnt vmcnt(0)
	v_add_f32_e32 v2, v2, v1
	s_min_u32 s1, s2, 0x100
	v_add_nc_u32_e32 v5, 1, v3
	v_add_nc_u32_e32 v7, 2, v3
	v_add_co_ci_u32_e64 v4, null, 0, v3, s0
	v_cndmask_b32_e32 v1, v1, v2, vcc_lo
	v_cmp_gt_u32_e32 vcc_lo, 30, v3
	v_cmp_gt_u32_e64 s0, 28, v3
	v_lshlrev_b32_e32 v2, 2, v4
	v_and_b32_e32 v4, 0xe0, v0
	v_cndmask_b32_e64 v6, 0, 2, vcc_lo
	ds_bpermute_b32 v2, v2, v1
	v_sub_nc_u32_e64 v4, s1, v4 clamp
	v_add_lshl_u32 v6, v6, v3, 2
	v_cmp_lt_u32_e32 vcc_lo, v5, v4
	s_waitcnt lgkmcnt(0)
	v_add_f32_e32 v2, v1, v2
	v_cndmask_b32_e32 v2, v1, v2, vcc_lo
	ds_bpermute_b32 v5, v6, v2
	v_cndmask_b32_e64 v6, 0, 4, s0
	v_cmp_lt_u32_e64 s0, v7, v4
	v_add_nc_u32_e32 v7, 4, v3
	v_add_lshl_u32 v6, v6, v3, 2
	s_waitcnt lgkmcnt(0)
	v_add_f32_e32 v5, v2, v5
	v_cndmask_b32_e64 v2, v2, v5, s0
	v_cmp_gt_u32_e64 s0, 24, v3
	ds_bpermute_b32 v5, v6, v2
	v_cndmask_b32_e64 v6, 0, 8, s0
	v_cmp_lt_u32_e64 s0, v7, v4
	v_add_nc_u32_e32 v7, 8, v3
	v_add_lshl_u32 v6, v6, v3, 2
	s_waitcnt lgkmcnt(0)
	v_add_f32_e32 v5, v2, v5
	v_cndmask_b32_e64 v5, v2, v5, s0
	v_lshlrev_b32_e32 v2, 2, v3
	v_cmp_lt_u32_e64 s0, v7, v4
	v_add_nc_u32_e32 v7, 16, v3
	ds_bpermute_b32 v6, v6, v5
	v_or_b32_e32 v8, 64, v2
	s_waitcnt lgkmcnt(0)
	v_add_f32_e32 v6, v5, v6
	v_cndmask_b32_e64 v5, v5, v6, s0
	v_cmp_lt_u32_e64 s0, v7, v4
	ds_bpermute_b32 v6, v8, v5
	s_waitcnt lgkmcnt(0)
	v_add_f32_e32 v6, v5, v6
	v_cndmask_b32_e64 v4, v5, v6, s0
	s_mov_b32 s0, exec_lo
	v_cndmask_b32_e32 v1, v1, v4, vcc_lo
	v_cmpx_eq_u32_e32 0, v3
; %bb.12:
	v_lshrrev_b32_e32 v4, 3, v0
	v_and_b32_e32 v4, 28, v4
	ds_write_b32 v4, v1 offset:32
; %bb.13:
	s_or_b32 exec_lo, exec_lo, s0
	s_mov_b32 s2, exec_lo
	s_waitcnt lgkmcnt(0)
	s_barrier
	buffer_gl0_inv
	v_cmpx_gt_u32_e32 8, v0
	s_cbranch_execz .LBB8_15
; %bb.14:
	ds_read_b32 v1, v2 offset:32
	v_and_b32_e32 v4, 7, v3
	s_add_i32 s1, s1, 31
	v_or_b32_e32 v2, 16, v2
	s_lshr_b32 s1, s1, 5
	v_cmp_ne_u32_e32 vcc_lo, 7, v4
	v_add_nc_u32_e32 v7, 1, v4
	v_add_co_ci_u32_e64 v5, null, 0, v3, vcc_lo
	v_cmp_gt_u32_e32 vcc_lo, 6, v4
	v_lshlrev_b32_e32 v5, 2, v5
	v_cndmask_b32_e64 v6, 0, 2, vcc_lo
	v_cmp_gt_u32_e32 vcc_lo, s1, v7
	s_waitcnt lgkmcnt(0)
	ds_bpermute_b32 v5, v5, v1
	v_add_lshl_u32 v3, v6, v3, 2
	v_add_nc_u32_e32 v6, 2, v4
	v_add_nc_u32_e32 v4, 4, v4
	v_cmp_gt_u32_e64 s0, s1, v6
	s_waitcnt lgkmcnt(0)
	v_add_f32_e32 v5, v1, v5
	v_cndmask_b32_e32 v5, v1, v5, vcc_lo
	ds_bpermute_b32 v3, v3, v5
	s_waitcnt lgkmcnt(0)
	v_add_f32_e32 v3, v5, v3
	v_cndmask_b32_e64 v3, v5, v3, s0
	v_cmp_gt_u32_e64 s0, s1, v4
	ds_bpermute_b32 v2, v2, v3
	s_waitcnt lgkmcnt(0)
	v_add_f32_e32 v2, v3, v2
	v_cndmask_b32_e64 v2, v3, v2, s0
	v_cndmask_b32_e32 v1, v1, v2, vcc_lo
.LBB8_15:
	s_or_b32 exec_lo, exec_lo, s2
.LBB8_16:
	s_load_dword s0, s[4:5], 0x30
	s_mov_b32 s1, exec_lo
	v_cmpx_eq_u32_e32 0, v0
	s_cbranch_execz .LBB8_18
; %bb.17:
	s_mul_i32 s1, s18, s17
	s_mul_hi_u32 s2, s18, s16
	s_mul_i32 s3, s19, s16
	s_add_i32 s1, s2, s1
	s_mul_i32 s2, s18, s16
	s_add_i32 s3, s1, s3
	s_lshl_b64 s[2:3], s[2:3], 2
	s_add_u32 s2, s14, s2
	s_addc_u32 s3, s15, s3
	s_cmp_eq_u64 s[12:13], 0
	s_cselect_b32 s1, -1, 0
	s_waitcnt lgkmcnt(0)
	v_cndmask_b32_e64 v0, v1, s0, s1
	s_lshl_b64 s[0:1], s[6:7], 2
	v_mov_b32_e32 v1, 0
	s_add_u32 s0, s2, s0
	s_addc_u32 s1, s3, s1
	global_store_dword v1, v0, s[0:1]
.LBB8_18:
	s_endpgm
	.section	.rodata,"a",@progbits
	.p2align	6, 0x0
	.amdhsa_kernel _ZN7rocprim17ROCPRIM_400000_NS6detail17trampoline_kernelINS0_14default_configENS1_22reduce_config_selectorIfEEZNS1_11reduce_implILb1ES3_PfS7_fN6thrust23THRUST_200600_302600_NS4plusIfEEEE10hipError_tPvRmT1_T2_T3_mT4_P12ihipStream_tbEUlT_E0_NS1_11comp_targetILNS1_3genE8ELNS1_11target_archE1030ELNS1_3gpuE2ELNS1_3repE0EEENS1_30default_config_static_selectorELNS0_4arch9wavefront6targetE0EEEvSF_
		.amdhsa_group_segment_fixed_size 64
		.amdhsa_private_segment_fixed_size 0
		.amdhsa_kernarg_size 56
		.amdhsa_user_sgpr_count 6
		.amdhsa_user_sgpr_private_segment_buffer 1
		.amdhsa_user_sgpr_dispatch_ptr 0
		.amdhsa_user_sgpr_queue_ptr 0
		.amdhsa_user_sgpr_kernarg_segment_ptr 1
		.amdhsa_user_sgpr_dispatch_id 0
		.amdhsa_user_sgpr_flat_scratch_init 0
		.amdhsa_user_sgpr_private_segment_size 0
		.amdhsa_wavefront_size32 1
		.amdhsa_uses_dynamic_stack 0
		.amdhsa_system_sgpr_private_segment_wavefront_offset 0
		.amdhsa_system_sgpr_workgroup_id_x 1
		.amdhsa_system_sgpr_workgroup_id_y 0
		.amdhsa_system_sgpr_workgroup_id_z 0
		.amdhsa_system_sgpr_workgroup_info 0
		.amdhsa_system_vgpr_workitem_id 0
		.amdhsa_next_free_vgpr 9
		.amdhsa_next_free_sgpr 20
		.amdhsa_reserve_vcc 1
		.amdhsa_reserve_flat_scratch 0
		.amdhsa_float_round_mode_32 0
		.amdhsa_float_round_mode_16_64 0
		.amdhsa_float_denorm_mode_32 3
		.amdhsa_float_denorm_mode_16_64 3
		.amdhsa_dx10_clamp 1
		.amdhsa_ieee_mode 1
		.amdhsa_fp16_overflow 0
		.amdhsa_workgroup_processor_mode 1
		.amdhsa_memory_ordered 1
		.amdhsa_forward_progress 1
		.amdhsa_shared_vgpr_count 0
		.amdhsa_exception_fp_ieee_invalid_op 0
		.amdhsa_exception_fp_denorm_src 0
		.amdhsa_exception_fp_ieee_div_zero 0
		.amdhsa_exception_fp_ieee_overflow 0
		.amdhsa_exception_fp_ieee_underflow 0
		.amdhsa_exception_fp_ieee_inexact 0
		.amdhsa_exception_int_div_zero 0
	.end_amdhsa_kernel
	.section	.text._ZN7rocprim17ROCPRIM_400000_NS6detail17trampoline_kernelINS0_14default_configENS1_22reduce_config_selectorIfEEZNS1_11reduce_implILb1ES3_PfS7_fN6thrust23THRUST_200600_302600_NS4plusIfEEEE10hipError_tPvRmT1_T2_T3_mT4_P12ihipStream_tbEUlT_E0_NS1_11comp_targetILNS1_3genE8ELNS1_11target_archE1030ELNS1_3gpuE2ELNS1_3repE0EEENS1_30default_config_static_selectorELNS0_4arch9wavefront6targetE0EEEvSF_,"axG",@progbits,_ZN7rocprim17ROCPRIM_400000_NS6detail17trampoline_kernelINS0_14default_configENS1_22reduce_config_selectorIfEEZNS1_11reduce_implILb1ES3_PfS7_fN6thrust23THRUST_200600_302600_NS4plusIfEEEE10hipError_tPvRmT1_T2_T3_mT4_P12ihipStream_tbEUlT_E0_NS1_11comp_targetILNS1_3genE8ELNS1_11target_archE1030ELNS1_3gpuE2ELNS1_3repE0EEENS1_30default_config_static_selectorELNS0_4arch9wavefront6targetE0EEEvSF_,comdat
.Lfunc_end8:
	.size	_ZN7rocprim17ROCPRIM_400000_NS6detail17trampoline_kernelINS0_14default_configENS1_22reduce_config_selectorIfEEZNS1_11reduce_implILb1ES3_PfS7_fN6thrust23THRUST_200600_302600_NS4plusIfEEEE10hipError_tPvRmT1_T2_T3_mT4_P12ihipStream_tbEUlT_E0_NS1_11comp_targetILNS1_3genE8ELNS1_11target_archE1030ELNS1_3gpuE2ELNS1_3repE0EEENS1_30default_config_static_selectorELNS0_4arch9wavefront6targetE0EEEvSF_, .Lfunc_end8-_ZN7rocprim17ROCPRIM_400000_NS6detail17trampoline_kernelINS0_14default_configENS1_22reduce_config_selectorIfEEZNS1_11reduce_implILb1ES3_PfS7_fN6thrust23THRUST_200600_302600_NS4plusIfEEEE10hipError_tPvRmT1_T2_T3_mT4_P12ihipStream_tbEUlT_E0_NS1_11comp_targetILNS1_3genE8ELNS1_11target_archE1030ELNS1_3gpuE2ELNS1_3repE0EEENS1_30default_config_static_selectorELNS0_4arch9wavefront6targetE0EEEvSF_
                                        ; -- End function
	.set _ZN7rocprim17ROCPRIM_400000_NS6detail17trampoline_kernelINS0_14default_configENS1_22reduce_config_selectorIfEEZNS1_11reduce_implILb1ES3_PfS7_fN6thrust23THRUST_200600_302600_NS4plusIfEEEE10hipError_tPvRmT1_T2_T3_mT4_P12ihipStream_tbEUlT_E0_NS1_11comp_targetILNS1_3genE8ELNS1_11target_archE1030ELNS1_3gpuE2ELNS1_3repE0EEENS1_30default_config_static_selectorELNS0_4arch9wavefront6targetE0EEEvSF_.num_vgpr, 9
	.set _ZN7rocprim17ROCPRIM_400000_NS6detail17trampoline_kernelINS0_14default_configENS1_22reduce_config_selectorIfEEZNS1_11reduce_implILb1ES3_PfS7_fN6thrust23THRUST_200600_302600_NS4plusIfEEEE10hipError_tPvRmT1_T2_T3_mT4_P12ihipStream_tbEUlT_E0_NS1_11comp_targetILNS1_3genE8ELNS1_11target_archE1030ELNS1_3gpuE2ELNS1_3repE0EEENS1_30default_config_static_selectorELNS0_4arch9wavefront6targetE0EEEvSF_.num_agpr, 0
	.set _ZN7rocprim17ROCPRIM_400000_NS6detail17trampoline_kernelINS0_14default_configENS1_22reduce_config_selectorIfEEZNS1_11reduce_implILb1ES3_PfS7_fN6thrust23THRUST_200600_302600_NS4plusIfEEEE10hipError_tPvRmT1_T2_T3_mT4_P12ihipStream_tbEUlT_E0_NS1_11comp_targetILNS1_3genE8ELNS1_11target_archE1030ELNS1_3gpuE2ELNS1_3repE0EEENS1_30default_config_static_selectorELNS0_4arch9wavefront6targetE0EEEvSF_.numbered_sgpr, 20
	.set _ZN7rocprim17ROCPRIM_400000_NS6detail17trampoline_kernelINS0_14default_configENS1_22reduce_config_selectorIfEEZNS1_11reduce_implILb1ES3_PfS7_fN6thrust23THRUST_200600_302600_NS4plusIfEEEE10hipError_tPvRmT1_T2_T3_mT4_P12ihipStream_tbEUlT_E0_NS1_11comp_targetILNS1_3genE8ELNS1_11target_archE1030ELNS1_3gpuE2ELNS1_3repE0EEENS1_30default_config_static_selectorELNS0_4arch9wavefront6targetE0EEEvSF_.num_named_barrier, 0
	.set _ZN7rocprim17ROCPRIM_400000_NS6detail17trampoline_kernelINS0_14default_configENS1_22reduce_config_selectorIfEEZNS1_11reduce_implILb1ES3_PfS7_fN6thrust23THRUST_200600_302600_NS4plusIfEEEE10hipError_tPvRmT1_T2_T3_mT4_P12ihipStream_tbEUlT_E0_NS1_11comp_targetILNS1_3genE8ELNS1_11target_archE1030ELNS1_3gpuE2ELNS1_3repE0EEENS1_30default_config_static_selectorELNS0_4arch9wavefront6targetE0EEEvSF_.private_seg_size, 0
	.set _ZN7rocprim17ROCPRIM_400000_NS6detail17trampoline_kernelINS0_14default_configENS1_22reduce_config_selectorIfEEZNS1_11reduce_implILb1ES3_PfS7_fN6thrust23THRUST_200600_302600_NS4plusIfEEEE10hipError_tPvRmT1_T2_T3_mT4_P12ihipStream_tbEUlT_E0_NS1_11comp_targetILNS1_3genE8ELNS1_11target_archE1030ELNS1_3gpuE2ELNS1_3repE0EEENS1_30default_config_static_selectorELNS0_4arch9wavefront6targetE0EEEvSF_.uses_vcc, 1
	.set _ZN7rocprim17ROCPRIM_400000_NS6detail17trampoline_kernelINS0_14default_configENS1_22reduce_config_selectorIfEEZNS1_11reduce_implILb1ES3_PfS7_fN6thrust23THRUST_200600_302600_NS4plusIfEEEE10hipError_tPvRmT1_T2_T3_mT4_P12ihipStream_tbEUlT_E0_NS1_11comp_targetILNS1_3genE8ELNS1_11target_archE1030ELNS1_3gpuE2ELNS1_3repE0EEENS1_30default_config_static_selectorELNS0_4arch9wavefront6targetE0EEEvSF_.uses_flat_scratch, 0
	.set _ZN7rocprim17ROCPRIM_400000_NS6detail17trampoline_kernelINS0_14default_configENS1_22reduce_config_selectorIfEEZNS1_11reduce_implILb1ES3_PfS7_fN6thrust23THRUST_200600_302600_NS4plusIfEEEE10hipError_tPvRmT1_T2_T3_mT4_P12ihipStream_tbEUlT_E0_NS1_11comp_targetILNS1_3genE8ELNS1_11target_archE1030ELNS1_3gpuE2ELNS1_3repE0EEENS1_30default_config_static_selectorELNS0_4arch9wavefront6targetE0EEEvSF_.has_dyn_sized_stack, 0
	.set _ZN7rocprim17ROCPRIM_400000_NS6detail17trampoline_kernelINS0_14default_configENS1_22reduce_config_selectorIfEEZNS1_11reduce_implILb1ES3_PfS7_fN6thrust23THRUST_200600_302600_NS4plusIfEEEE10hipError_tPvRmT1_T2_T3_mT4_P12ihipStream_tbEUlT_E0_NS1_11comp_targetILNS1_3genE8ELNS1_11target_archE1030ELNS1_3gpuE2ELNS1_3repE0EEENS1_30default_config_static_selectorELNS0_4arch9wavefront6targetE0EEEvSF_.has_recursion, 0
	.set _ZN7rocprim17ROCPRIM_400000_NS6detail17trampoline_kernelINS0_14default_configENS1_22reduce_config_selectorIfEEZNS1_11reduce_implILb1ES3_PfS7_fN6thrust23THRUST_200600_302600_NS4plusIfEEEE10hipError_tPvRmT1_T2_T3_mT4_P12ihipStream_tbEUlT_E0_NS1_11comp_targetILNS1_3genE8ELNS1_11target_archE1030ELNS1_3gpuE2ELNS1_3repE0EEENS1_30default_config_static_selectorELNS0_4arch9wavefront6targetE0EEEvSF_.has_indirect_call, 0
	.section	.AMDGPU.csdata,"",@progbits
; Kernel info:
; codeLenInByte = 1104
; TotalNumSgprs: 22
; NumVgprs: 9
; ScratchSize: 0
; MemoryBound: 0
; FloatMode: 240
; IeeeMode: 1
; LDSByteSize: 64 bytes/workgroup (compile time only)
; SGPRBlocks: 0
; VGPRBlocks: 1
; NumSGPRsForWavesPerEU: 22
; NumVGPRsForWavesPerEU: 9
; Occupancy: 16
; WaveLimiterHint : 1
; COMPUTE_PGM_RSRC2:SCRATCH_EN: 0
; COMPUTE_PGM_RSRC2:USER_SGPR: 6
; COMPUTE_PGM_RSRC2:TRAP_HANDLER: 0
; COMPUTE_PGM_RSRC2:TGID_X_EN: 1
; COMPUTE_PGM_RSRC2:TGID_Y_EN: 0
; COMPUTE_PGM_RSRC2:TGID_Z_EN: 0
; COMPUTE_PGM_RSRC2:TIDIG_COMP_CNT: 0
	.section	.text._ZN7rocprim17ROCPRIM_400000_NS6detail17trampoline_kernelINS0_14default_configENS1_22reduce_config_selectorIfEEZNS1_11reduce_implILb1ES3_PfS7_fN6thrust23THRUST_200600_302600_NS4plusIfEEEE10hipError_tPvRmT1_T2_T3_mT4_P12ihipStream_tbEUlT_E1_NS1_11comp_targetILNS1_3genE0ELNS1_11target_archE4294967295ELNS1_3gpuE0ELNS1_3repE0EEENS1_30default_config_static_selectorELNS0_4arch9wavefront6targetE0EEEvSF_,"axG",@progbits,_ZN7rocprim17ROCPRIM_400000_NS6detail17trampoline_kernelINS0_14default_configENS1_22reduce_config_selectorIfEEZNS1_11reduce_implILb1ES3_PfS7_fN6thrust23THRUST_200600_302600_NS4plusIfEEEE10hipError_tPvRmT1_T2_T3_mT4_P12ihipStream_tbEUlT_E1_NS1_11comp_targetILNS1_3genE0ELNS1_11target_archE4294967295ELNS1_3gpuE0ELNS1_3repE0EEENS1_30default_config_static_selectorELNS0_4arch9wavefront6targetE0EEEvSF_,comdat
	.protected	_ZN7rocprim17ROCPRIM_400000_NS6detail17trampoline_kernelINS0_14default_configENS1_22reduce_config_selectorIfEEZNS1_11reduce_implILb1ES3_PfS7_fN6thrust23THRUST_200600_302600_NS4plusIfEEEE10hipError_tPvRmT1_T2_T3_mT4_P12ihipStream_tbEUlT_E1_NS1_11comp_targetILNS1_3genE0ELNS1_11target_archE4294967295ELNS1_3gpuE0ELNS1_3repE0EEENS1_30default_config_static_selectorELNS0_4arch9wavefront6targetE0EEEvSF_ ; -- Begin function _ZN7rocprim17ROCPRIM_400000_NS6detail17trampoline_kernelINS0_14default_configENS1_22reduce_config_selectorIfEEZNS1_11reduce_implILb1ES3_PfS7_fN6thrust23THRUST_200600_302600_NS4plusIfEEEE10hipError_tPvRmT1_T2_T3_mT4_P12ihipStream_tbEUlT_E1_NS1_11comp_targetILNS1_3genE0ELNS1_11target_archE4294967295ELNS1_3gpuE0ELNS1_3repE0EEENS1_30default_config_static_selectorELNS0_4arch9wavefront6targetE0EEEvSF_
	.globl	_ZN7rocprim17ROCPRIM_400000_NS6detail17trampoline_kernelINS0_14default_configENS1_22reduce_config_selectorIfEEZNS1_11reduce_implILb1ES3_PfS7_fN6thrust23THRUST_200600_302600_NS4plusIfEEEE10hipError_tPvRmT1_T2_T3_mT4_P12ihipStream_tbEUlT_E1_NS1_11comp_targetILNS1_3genE0ELNS1_11target_archE4294967295ELNS1_3gpuE0ELNS1_3repE0EEENS1_30default_config_static_selectorELNS0_4arch9wavefront6targetE0EEEvSF_
	.p2align	8
	.type	_ZN7rocprim17ROCPRIM_400000_NS6detail17trampoline_kernelINS0_14default_configENS1_22reduce_config_selectorIfEEZNS1_11reduce_implILb1ES3_PfS7_fN6thrust23THRUST_200600_302600_NS4plusIfEEEE10hipError_tPvRmT1_T2_T3_mT4_P12ihipStream_tbEUlT_E1_NS1_11comp_targetILNS1_3genE0ELNS1_11target_archE4294967295ELNS1_3gpuE0ELNS1_3repE0EEENS1_30default_config_static_selectorELNS0_4arch9wavefront6targetE0EEEvSF_,@function
_ZN7rocprim17ROCPRIM_400000_NS6detail17trampoline_kernelINS0_14default_configENS1_22reduce_config_selectorIfEEZNS1_11reduce_implILb1ES3_PfS7_fN6thrust23THRUST_200600_302600_NS4plusIfEEEE10hipError_tPvRmT1_T2_T3_mT4_P12ihipStream_tbEUlT_E1_NS1_11comp_targetILNS1_3genE0ELNS1_11target_archE4294967295ELNS1_3gpuE0ELNS1_3repE0EEENS1_30default_config_static_selectorELNS0_4arch9wavefront6targetE0EEEvSF_: ; @_ZN7rocprim17ROCPRIM_400000_NS6detail17trampoline_kernelINS0_14default_configENS1_22reduce_config_selectorIfEEZNS1_11reduce_implILb1ES3_PfS7_fN6thrust23THRUST_200600_302600_NS4plusIfEEEE10hipError_tPvRmT1_T2_T3_mT4_P12ihipStream_tbEUlT_E1_NS1_11comp_targetILNS1_3genE0ELNS1_11target_archE4294967295ELNS1_3gpuE0ELNS1_3repE0EEENS1_30default_config_static_selectorELNS0_4arch9wavefront6targetE0EEEvSF_
; %bb.0:
	.section	.rodata,"a",@progbits
	.p2align	6, 0x0
	.amdhsa_kernel _ZN7rocprim17ROCPRIM_400000_NS6detail17trampoline_kernelINS0_14default_configENS1_22reduce_config_selectorIfEEZNS1_11reduce_implILb1ES3_PfS7_fN6thrust23THRUST_200600_302600_NS4plusIfEEEE10hipError_tPvRmT1_T2_T3_mT4_P12ihipStream_tbEUlT_E1_NS1_11comp_targetILNS1_3genE0ELNS1_11target_archE4294967295ELNS1_3gpuE0ELNS1_3repE0EEENS1_30default_config_static_selectorELNS0_4arch9wavefront6targetE0EEEvSF_
		.amdhsa_group_segment_fixed_size 0
		.amdhsa_private_segment_fixed_size 0
		.amdhsa_kernarg_size 40
		.amdhsa_user_sgpr_count 6
		.amdhsa_user_sgpr_private_segment_buffer 1
		.amdhsa_user_sgpr_dispatch_ptr 0
		.amdhsa_user_sgpr_queue_ptr 0
		.amdhsa_user_sgpr_kernarg_segment_ptr 1
		.amdhsa_user_sgpr_dispatch_id 0
		.amdhsa_user_sgpr_flat_scratch_init 0
		.amdhsa_user_sgpr_private_segment_size 0
		.amdhsa_wavefront_size32 1
		.amdhsa_uses_dynamic_stack 0
		.amdhsa_system_sgpr_private_segment_wavefront_offset 0
		.amdhsa_system_sgpr_workgroup_id_x 1
		.amdhsa_system_sgpr_workgroup_id_y 0
		.amdhsa_system_sgpr_workgroup_id_z 0
		.amdhsa_system_sgpr_workgroup_info 0
		.amdhsa_system_vgpr_workitem_id 0
		.amdhsa_next_free_vgpr 1
		.amdhsa_next_free_sgpr 1
		.amdhsa_reserve_vcc 0
		.amdhsa_reserve_flat_scratch 0
		.amdhsa_float_round_mode_32 0
		.amdhsa_float_round_mode_16_64 0
		.amdhsa_float_denorm_mode_32 3
		.amdhsa_float_denorm_mode_16_64 3
		.amdhsa_dx10_clamp 1
		.amdhsa_ieee_mode 1
		.amdhsa_fp16_overflow 0
		.amdhsa_workgroup_processor_mode 1
		.amdhsa_memory_ordered 1
		.amdhsa_forward_progress 1
		.amdhsa_shared_vgpr_count 0
		.amdhsa_exception_fp_ieee_invalid_op 0
		.amdhsa_exception_fp_denorm_src 0
		.amdhsa_exception_fp_ieee_div_zero 0
		.amdhsa_exception_fp_ieee_overflow 0
		.amdhsa_exception_fp_ieee_underflow 0
		.amdhsa_exception_fp_ieee_inexact 0
		.amdhsa_exception_int_div_zero 0
	.end_amdhsa_kernel
	.section	.text._ZN7rocprim17ROCPRIM_400000_NS6detail17trampoline_kernelINS0_14default_configENS1_22reduce_config_selectorIfEEZNS1_11reduce_implILb1ES3_PfS7_fN6thrust23THRUST_200600_302600_NS4plusIfEEEE10hipError_tPvRmT1_T2_T3_mT4_P12ihipStream_tbEUlT_E1_NS1_11comp_targetILNS1_3genE0ELNS1_11target_archE4294967295ELNS1_3gpuE0ELNS1_3repE0EEENS1_30default_config_static_selectorELNS0_4arch9wavefront6targetE0EEEvSF_,"axG",@progbits,_ZN7rocprim17ROCPRIM_400000_NS6detail17trampoline_kernelINS0_14default_configENS1_22reduce_config_selectorIfEEZNS1_11reduce_implILb1ES3_PfS7_fN6thrust23THRUST_200600_302600_NS4plusIfEEEE10hipError_tPvRmT1_T2_T3_mT4_P12ihipStream_tbEUlT_E1_NS1_11comp_targetILNS1_3genE0ELNS1_11target_archE4294967295ELNS1_3gpuE0ELNS1_3repE0EEENS1_30default_config_static_selectorELNS0_4arch9wavefront6targetE0EEEvSF_,comdat
.Lfunc_end9:
	.size	_ZN7rocprim17ROCPRIM_400000_NS6detail17trampoline_kernelINS0_14default_configENS1_22reduce_config_selectorIfEEZNS1_11reduce_implILb1ES3_PfS7_fN6thrust23THRUST_200600_302600_NS4plusIfEEEE10hipError_tPvRmT1_T2_T3_mT4_P12ihipStream_tbEUlT_E1_NS1_11comp_targetILNS1_3genE0ELNS1_11target_archE4294967295ELNS1_3gpuE0ELNS1_3repE0EEENS1_30default_config_static_selectorELNS0_4arch9wavefront6targetE0EEEvSF_, .Lfunc_end9-_ZN7rocprim17ROCPRIM_400000_NS6detail17trampoline_kernelINS0_14default_configENS1_22reduce_config_selectorIfEEZNS1_11reduce_implILb1ES3_PfS7_fN6thrust23THRUST_200600_302600_NS4plusIfEEEE10hipError_tPvRmT1_T2_T3_mT4_P12ihipStream_tbEUlT_E1_NS1_11comp_targetILNS1_3genE0ELNS1_11target_archE4294967295ELNS1_3gpuE0ELNS1_3repE0EEENS1_30default_config_static_selectorELNS0_4arch9wavefront6targetE0EEEvSF_
                                        ; -- End function
	.set _ZN7rocprim17ROCPRIM_400000_NS6detail17trampoline_kernelINS0_14default_configENS1_22reduce_config_selectorIfEEZNS1_11reduce_implILb1ES3_PfS7_fN6thrust23THRUST_200600_302600_NS4plusIfEEEE10hipError_tPvRmT1_T2_T3_mT4_P12ihipStream_tbEUlT_E1_NS1_11comp_targetILNS1_3genE0ELNS1_11target_archE4294967295ELNS1_3gpuE0ELNS1_3repE0EEENS1_30default_config_static_selectorELNS0_4arch9wavefront6targetE0EEEvSF_.num_vgpr, 0
	.set _ZN7rocprim17ROCPRIM_400000_NS6detail17trampoline_kernelINS0_14default_configENS1_22reduce_config_selectorIfEEZNS1_11reduce_implILb1ES3_PfS7_fN6thrust23THRUST_200600_302600_NS4plusIfEEEE10hipError_tPvRmT1_T2_T3_mT4_P12ihipStream_tbEUlT_E1_NS1_11comp_targetILNS1_3genE0ELNS1_11target_archE4294967295ELNS1_3gpuE0ELNS1_3repE0EEENS1_30default_config_static_selectorELNS0_4arch9wavefront6targetE0EEEvSF_.num_agpr, 0
	.set _ZN7rocprim17ROCPRIM_400000_NS6detail17trampoline_kernelINS0_14default_configENS1_22reduce_config_selectorIfEEZNS1_11reduce_implILb1ES3_PfS7_fN6thrust23THRUST_200600_302600_NS4plusIfEEEE10hipError_tPvRmT1_T2_T3_mT4_P12ihipStream_tbEUlT_E1_NS1_11comp_targetILNS1_3genE0ELNS1_11target_archE4294967295ELNS1_3gpuE0ELNS1_3repE0EEENS1_30default_config_static_selectorELNS0_4arch9wavefront6targetE0EEEvSF_.numbered_sgpr, 0
	.set _ZN7rocprim17ROCPRIM_400000_NS6detail17trampoline_kernelINS0_14default_configENS1_22reduce_config_selectorIfEEZNS1_11reduce_implILb1ES3_PfS7_fN6thrust23THRUST_200600_302600_NS4plusIfEEEE10hipError_tPvRmT1_T2_T3_mT4_P12ihipStream_tbEUlT_E1_NS1_11comp_targetILNS1_3genE0ELNS1_11target_archE4294967295ELNS1_3gpuE0ELNS1_3repE0EEENS1_30default_config_static_selectorELNS0_4arch9wavefront6targetE0EEEvSF_.num_named_barrier, 0
	.set _ZN7rocprim17ROCPRIM_400000_NS6detail17trampoline_kernelINS0_14default_configENS1_22reduce_config_selectorIfEEZNS1_11reduce_implILb1ES3_PfS7_fN6thrust23THRUST_200600_302600_NS4plusIfEEEE10hipError_tPvRmT1_T2_T3_mT4_P12ihipStream_tbEUlT_E1_NS1_11comp_targetILNS1_3genE0ELNS1_11target_archE4294967295ELNS1_3gpuE0ELNS1_3repE0EEENS1_30default_config_static_selectorELNS0_4arch9wavefront6targetE0EEEvSF_.private_seg_size, 0
	.set _ZN7rocprim17ROCPRIM_400000_NS6detail17trampoline_kernelINS0_14default_configENS1_22reduce_config_selectorIfEEZNS1_11reduce_implILb1ES3_PfS7_fN6thrust23THRUST_200600_302600_NS4plusIfEEEE10hipError_tPvRmT1_T2_T3_mT4_P12ihipStream_tbEUlT_E1_NS1_11comp_targetILNS1_3genE0ELNS1_11target_archE4294967295ELNS1_3gpuE0ELNS1_3repE0EEENS1_30default_config_static_selectorELNS0_4arch9wavefront6targetE0EEEvSF_.uses_vcc, 0
	.set _ZN7rocprim17ROCPRIM_400000_NS6detail17trampoline_kernelINS0_14default_configENS1_22reduce_config_selectorIfEEZNS1_11reduce_implILb1ES3_PfS7_fN6thrust23THRUST_200600_302600_NS4plusIfEEEE10hipError_tPvRmT1_T2_T3_mT4_P12ihipStream_tbEUlT_E1_NS1_11comp_targetILNS1_3genE0ELNS1_11target_archE4294967295ELNS1_3gpuE0ELNS1_3repE0EEENS1_30default_config_static_selectorELNS0_4arch9wavefront6targetE0EEEvSF_.uses_flat_scratch, 0
	.set _ZN7rocprim17ROCPRIM_400000_NS6detail17trampoline_kernelINS0_14default_configENS1_22reduce_config_selectorIfEEZNS1_11reduce_implILb1ES3_PfS7_fN6thrust23THRUST_200600_302600_NS4plusIfEEEE10hipError_tPvRmT1_T2_T3_mT4_P12ihipStream_tbEUlT_E1_NS1_11comp_targetILNS1_3genE0ELNS1_11target_archE4294967295ELNS1_3gpuE0ELNS1_3repE0EEENS1_30default_config_static_selectorELNS0_4arch9wavefront6targetE0EEEvSF_.has_dyn_sized_stack, 0
	.set _ZN7rocprim17ROCPRIM_400000_NS6detail17trampoline_kernelINS0_14default_configENS1_22reduce_config_selectorIfEEZNS1_11reduce_implILb1ES3_PfS7_fN6thrust23THRUST_200600_302600_NS4plusIfEEEE10hipError_tPvRmT1_T2_T3_mT4_P12ihipStream_tbEUlT_E1_NS1_11comp_targetILNS1_3genE0ELNS1_11target_archE4294967295ELNS1_3gpuE0ELNS1_3repE0EEENS1_30default_config_static_selectorELNS0_4arch9wavefront6targetE0EEEvSF_.has_recursion, 0
	.set _ZN7rocprim17ROCPRIM_400000_NS6detail17trampoline_kernelINS0_14default_configENS1_22reduce_config_selectorIfEEZNS1_11reduce_implILb1ES3_PfS7_fN6thrust23THRUST_200600_302600_NS4plusIfEEEE10hipError_tPvRmT1_T2_T3_mT4_P12ihipStream_tbEUlT_E1_NS1_11comp_targetILNS1_3genE0ELNS1_11target_archE4294967295ELNS1_3gpuE0ELNS1_3repE0EEENS1_30default_config_static_selectorELNS0_4arch9wavefront6targetE0EEEvSF_.has_indirect_call, 0
	.section	.AMDGPU.csdata,"",@progbits
; Kernel info:
; codeLenInByte = 0
; TotalNumSgprs: 0
; NumVgprs: 0
; ScratchSize: 0
; MemoryBound: 0
; FloatMode: 240
; IeeeMode: 1
; LDSByteSize: 0 bytes/workgroup (compile time only)
; SGPRBlocks: 0
; VGPRBlocks: 0
; NumSGPRsForWavesPerEU: 1
; NumVGPRsForWavesPerEU: 1
; Occupancy: 16
; WaveLimiterHint : 0
; COMPUTE_PGM_RSRC2:SCRATCH_EN: 0
; COMPUTE_PGM_RSRC2:USER_SGPR: 6
; COMPUTE_PGM_RSRC2:TRAP_HANDLER: 0
; COMPUTE_PGM_RSRC2:TGID_X_EN: 1
; COMPUTE_PGM_RSRC2:TGID_Y_EN: 0
; COMPUTE_PGM_RSRC2:TGID_Z_EN: 0
; COMPUTE_PGM_RSRC2:TIDIG_COMP_CNT: 0
	.section	.text._ZN7rocprim17ROCPRIM_400000_NS6detail17trampoline_kernelINS0_14default_configENS1_22reduce_config_selectorIfEEZNS1_11reduce_implILb1ES3_PfS7_fN6thrust23THRUST_200600_302600_NS4plusIfEEEE10hipError_tPvRmT1_T2_T3_mT4_P12ihipStream_tbEUlT_E1_NS1_11comp_targetILNS1_3genE5ELNS1_11target_archE942ELNS1_3gpuE9ELNS1_3repE0EEENS1_30default_config_static_selectorELNS0_4arch9wavefront6targetE0EEEvSF_,"axG",@progbits,_ZN7rocprim17ROCPRIM_400000_NS6detail17trampoline_kernelINS0_14default_configENS1_22reduce_config_selectorIfEEZNS1_11reduce_implILb1ES3_PfS7_fN6thrust23THRUST_200600_302600_NS4plusIfEEEE10hipError_tPvRmT1_T2_T3_mT4_P12ihipStream_tbEUlT_E1_NS1_11comp_targetILNS1_3genE5ELNS1_11target_archE942ELNS1_3gpuE9ELNS1_3repE0EEENS1_30default_config_static_selectorELNS0_4arch9wavefront6targetE0EEEvSF_,comdat
	.protected	_ZN7rocprim17ROCPRIM_400000_NS6detail17trampoline_kernelINS0_14default_configENS1_22reduce_config_selectorIfEEZNS1_11reduce_implILb1ES3_PfS7_fN6thrust23THRUST_200600_302600_NS4plusIfEEEE10hipError_tPvRmT1_T2_T3_mT4_P12ihipStream_tbEUlT_E1_NS1_11comp_targetILNS1_3genE5ELNS1_11target_archE942ELNS1_3gpuE9ELNS1_3repE0EEENS1_30default_config_static_selectorELNS0_4arch9wavefront6targetE0EEEvSF_ ; -- Begin function _ZN7rocprim17ROCPRIM_400000_NS6detail17trampoline_kernelINS0_14default_configENS1_22reduce_config_selectorIfEEZNS1_11reduce_implILb1ES3_PfS7_fN6thrust23THRUST_200600_302600_NS4plusIfEEEE10hipError_tPvRmT1_T2_T3_mT4_P12ihipStream_tbEUlT_E1_NS1_11comp_targetILNS1_3genE5ELNS1_11target_archE942ELNS1_3gpuE9ELNS1_3repE0EEENS1_30default_config_static_selectorELNS0_4arch9wavefront6targetE0EEEvSF_
	.globl	_ZN7rocprim17ROCPRIM_400000_NS6detail17trampoline_kernelINS0_14default_configENS1_22reduce_config_selectorIfEEZNS1_11reduce_implILb1ES3_PfS7_fN6thrust23THRUST_200600_302600_NS4plusIfEEEE10hipError_tPvRmT1_T2_T3_mT4_P12ihipStream_tbEUlT_E1_NS1_11comp_targetILNS1_3genE5ELNS1_11target_archE942ELNS1_3gpuE9ELNS1_3repE0EEENS1_30default_config_static_selectorELNS0_4arch9wavefront6targetE0EEEvSF_
	.p2align	8
	.type	_ZN7rocprim17ROCPRIM_400000_NS6detail17trampoline_kernelINS0_14default_configENS1_22reduce_config_selectorIfEEZNS1_11reduce_implILb1ES3_PfS7_fN6thrust23THRUST_200600_302600_NS4plusIfEEEE10hipError_tPvRmT1_T2_T3_mT4_P12ihipStream_tbEUlT_E1_NS1_11comp_targetILNS1_3genE5ELNS1_11target_archE942ELNS1_3gpuE9ELNS1_3repE0EEENS1_30default_config_static_selectorELNS0_4arch9wavefront6targetE0EEEvSF_,@function
_ZN7rocprim17ROCPRIM_400000_NS6detail17trampoline_kernelINS0_14default_configENS1_22reduce_config_selectorIfEEZNS1_11reduce_implILb1ES3_PfS7_fN6thrust23THRUST_200600_302600_NS4plusIfEEEE10hipError_tPvRmT1_T2_T3_mT4_P12ihipStream_tbEUlT_E1_NS1_11comp_targetILNS1_3genE5ELNS1_11target_archE942ELNS1_3gpuE9ELNS1_3repE0EEENS1_30default_config_static_selectorELNS0_4arch9wavefront6targetE0EEEvSF_: ; @_ZN7rocprim17ROCPRIM_400000_NS6detail17trampoline_kernelINS0_14default_configENS1_22reduce_config_selectorIfEEZNS1_11reduce_implILb1ES3_PfS7_fN6thrust23THRUST_200600_302600_NS4plusIfEEEE10hipError_tPvRmT1_T2_T3_mT4_P12ihipStream_tbEUlT_E1_NS1_11comp_targetILNS1_3genE5ELNS1_11target_archE942ELNS1_3gpuE9ELNS1_3repE0EEENS1_30default_config_static_selectorELNS0_4arch9wavefront6targetE0EEEvSF_
; %bb.0:
	.section	.rodata,"a",@progbits
	.p2align	6, 0x0
	.amdhsa_kernel _ZN7rocprim17ROCPRIM_400000_NS6detail17trampoline_kernelINS0_14default_configENS1_22reduce_config_selectorIfEEZNS1_11reduce_implILb1ES3_PfS7_fN6thrust23THRUST_200600_302600_NS4plusIfEEEE10hipError_tPvRmT1_T2_T3_mT4_P12ihipStream_tbEUlT_E1_NS1_11comp_targetILNS1_3genE5ELNS1_11target_archE942ELNS1_3gpuE9ELNS1_3repE0EEENS1_30default_config_static_selectorELNS0_4arch9wavefront6targetE0EEEvSF_
		.amdhsa_group_segment_fixed_size 0
		.amdhsa_private_segment_fixed_size 0
		.amdhsa_kernarg_size 40
		.amdhsa_user_sgpr_count 6
		.amdhsa_user_sgpr_private_segment_buffer 1
		.amdhsa_user_sgpr_dispatch_ptr 0
		.amdhsa_user_sgpr_queue_ptr 0
		.amdhsa_user_sgpr_kernarg_segment_ptr 1
		.amdhsa_user_sgpr_dispatch_id 0
		.amdhsa_user_sgpr_flat_scratch_init 0
		.amdhsa_user_sgpr_private_segment_size 0
		.amdhsa_wavefront_size32 1
		.amdhsa_uses_dynamic_stack 0
		.amdhsa_system_sgpr_private_segment_wavefront_offset 0
		.amdhsa_system_sgpr_workgroup_id_x 1
		.amdhsa_system_sgpr_workgroup_id_y 0
		.amdhsa_system_sgpr_workgroup_id_z 0
		.amdhsa_system_sgpr_workgroup_info 0
		.amdhsa_system_vgpr_workitem_id 0
		.amdhsa_next_free_vgpr 1
		.amdhsa_next_free_sgpr 1
		.amdhsa_reserve_vcc 0
		.amdhsa_reserve_flat_scratch 0
		.amdhsa_float_round_mode_32 0
		.amdhsa_float_round_mode_16_64 0
		.amdhsa_float_denorm_mode_32 3
		.amdhsa_float_denorm_mode_16_64 3
		.amdhsa_dx10_clamp 1
		.amdhsa_ieee_mode 1
		.amdhsa_fp16_overflow 0
		.amdhsa_workgroup_processor_mode 1
		.amdhsa_memory_ordered 1
		.amdhsa_forward_progress 1
		.amdhsa_shared_vgpr_count 0
		.amdhsa_exception_fp_ieee_invalid_op 0
		.amdhsa_exception_fp_denorm_src 0
		.amdhsa_exception_fp_ieee_div_zero 0
		.amdhsa_exception_fp_ieee_overflow 0
		.amdhsa_exception_fp_ieee_underflow 0
		.amdhsa_exception_fp_ieee_inexact 0
		.amdhsa_exception_int_div_zero 0
	.end_amdhsa_kernel
	.section	.text._ZN7rocprim17ROCPRIM_400000_NS6detail17trampoline_kernelINS0_14default_configENS1_22reduce_config_selectorIfEEZNS1_11reduce_implILb1ES3_PfS7_fN6thrust23THRUST_200600_302600_NS4plusIfEEEE10hipError_tPvRmT1_T2_T3_mT4_P12ihipStream_tbEUlT_E1_NS1_11comp_targetILNS1_3genE5ELNS1_11target_archE942ELNS1_3gpuE9ELNS1_3repE0EEENS1_30default_config_static_selectorELNS0_4arch9wavefront6targetE0EEEvSF_,"axG",@progbits,_ZN7rocprim17ROCPRIM_400000_NS6detail17trampoline_kernelINS0_14default_configENS1_22reduce_config_selectorIfEEZNS1_11reduce_implILb1ES3_PfS7_fN6thrust23THRUST_200600_302600_NS4plusIfEEEE10hipError_tPvRmT1_T2_T3_mT4_P12ihipStream_tbEUlT_E1_NS1_11comp_targetILNS1_3genE5ELNS1_11target_archE942ELNS1_3gpuE9ELNS1_3repE0EEENS1_30default_config_static_selectorELNS0_4arch9wavefront6targetE0EEEvSF_,comdat
.Lfunc_end10:
	.size	_ZN7rocprim17ROCPRIM_400000_NS6detail17trampoline_kernelINS0_14default_configENS1_22reduce_config_selectorIfEEZNS1_11reduce_implILb1ES3_PfS7_fN6thrust23THRUST_200600_302600_NS4plusIfEEEE10hipError_tPvRmT1_T2_T3_mT4_P12ihipStream_tbEUlT_E1_NS1_11comp_targetILNS1_3genE5ELNS1_11target_archE942ELNS1_3gpuE9ELNS1_3repE0EEENS1_30default_config_static_selectorELNS0_4arch9wavefront6targetE0EEEvSF_, .Lfunc_end10-_ZN7rocprim17ROCPRIM_400000_NS6detail17trampoline_kernelINS0_14default_configENS1_22reduce_config_selectorIfEEZNS1_11reduce_implILb1ES3_PfS7_fN6thrust23THRUST_200600_302600_NS4plusIfEEEE10hipError_tPvRmT1_T2_T3_mT4_P12ihipStream_tbEUlT_E1_NS1_11comp_targetILNS1_3genE5ELNS1_11target_archE942ELNS1_3gpuE9ELNS1_3repE0EEENS1_30default_config_static_selectorELNS0_4arch9wavefront6targetE0EEEvSF_
                                        ; -- End function
	.set _ZN7rocprim17ROCPRIM_400000_NS6detail17trampoline_kernelINS0_14default_configENS1_22reduce_config_selectorIfEEZNS1_11reduce_implILb1ES3_PfS7_fN6thrust23THRUST_200600_302600_NS4plusIfEEEE10hipError_tPvRmT1_T2_T3_mT4_P12ihipStream_tbEUlT_E1_NS1_11comp_targetILNS1_3genE5ELNS1_11target_archE942ELNS1_3gpuE9ELNS1_3repE0EEENS1_30default_config_static_selectorELNS0_4arch9wavefront6targetE0EEEvSF_.num_vgpr, 0
	.set _ZN7rocprim17ROCPRIM_400000_NS6detail17trampoline_kernelINS0_14default_configENS1_22reduce_config_selectorIfEEZNS1_11reduce_implILb1ES3_PfS7_fN6thrust23THRUST_200600_302600_NS4plusIfEEEE10hipError_tPvRmT1_T2_T3_mT4_P12ihipStream_tbEUlT_E1_NS1_11comp_targetILNS1_3genE5ELNS1_11target_archE942ELNS1_3gpuE9ELNS1_3repE0EEENS1_30default_config_static_selectorELNS0_4arch9wavefront6targetE0EEEvSF_.num_agpr, 0
	.set _ZN7rocprim17ROCPRIM_400000_NS6detail17trampoline_kernelINS0_14default_configENS1_22reduce_config_selectorIfEEZNS1_11reduce_implILb1ES3_PfS7_fN6thrust23THRUST_200600_302600_NS4plusIfEEEE10hipError_tPvRmT1_T2_T3_mT4_P12ihipStream_tbEUlT_E1_NS1_11comp_targetILNS1_3genE5ELNS1_11target_archE942ELNS1_3gpuE9ELNS1_3repE0EEENS1_30default_config_static_selectorELNS0_4arch9wavefront6targetE0EEEvSF_.numbered_sgpr, 0
	.set _ZN7rocprim17ROCPRIM_400000_NS6detail17trampoline_kernelINS0_14default_configENS1_22reduce_config_selectorIfEEZNS1_11reduce_implILb1ES3_PfS7_fN6thrust23THRUST_200600_302600_NS4plusIfEEEE10hipError_tPvRmT1_T2_T3_mT4_P12ihipStream_tbEUlT_E1_NS1_11comp_targetILNS1_3genE5ELNS1_11target_archE942ELNS1_3gpuE9ELNS1_3repE0EEENS1_30default_config_static_selectorELNS0_4arch9wavefront6targetE0EEEvSF_.num_named_barrier, 0
	.set _ZN7rocprim17ROCPRIM_400000_NS6detail17trampoline_kernelINS0_14default_configENS1_22reduce_config_selectorIfEEZNS1_11reduce_implILb1ES3_PfS7_fN6thrust23THRUST_200600_302600_NS4plusIfEEEE10hipError_tPvRmT1_T2_T3_mT4_P12ihipStream_tbEUlT_E1_NS1_11comp_targetILNS1_3genE5ELNS1_11target_archE942ELNS1_3gpuE9ELNS1_3repE0EEENS1_30default_config_static_selectorELNS0_4arch9wavefront6targetE0EEEvSF_.private_seg_size, 0
	.set _ZN7rocprim17ROCPRIM_400000_NS6detail17trampoline_kernelINS0_14default_configENS1_22reduce_config_selectorIfEEZNS1_11reduce_implILb1ES3_PfS7_fN6thrust23THRUST_200600_302600_NS4plusIfEEEE10hipError_tPvRmT1_T2_T3_mT4_P12ihipStream_tbEUlT_E1_NS1_11comp_targetILNS1_3genE5ELNS1_11target_archE942ELNS1_3gpuE9ELNS1_3repE0EEENS1_30default_config_static_selectorELNS0_4arch9wavefront6targetE0EEEvSF_.uses_vcc, 0
	.set _ZN7rocprim17ROCPRIM_400000_NS6detail17trampoline_kernelINS0_14default_configENS1_22reduce_config_selectorIfEEZNS1_11reduce_implILb1ES3_PfS7_fN6thrust23THRUST_200600_302600_NS4plusIfEEEE10hipError_tPvRmT1_T2_T3_mT4_P12ihipStream_tbEUlT_E1_NS1_11comp_targetILNS1_3genE5ELNS1_11target_archE942ELNS1_3gpuE9ELNS1_3repE0EEENS1_30default_config_static_selectorELNS0_4arch9wavefront6targetE0EEEvSF_.uses_flat_scratch, 0
	.set _ZN7rocprim17ROCPRIM_400000_NS6detail17trampoline_kernelINS0_14default_configENS1_22reduce_config_selectorIfEEZNS1_11reduce_implILb1ES3_PfS7_fN6thrust23THRUST_200600_302600_NS4plusIfEEEE10hipError_tPvRmT1_T2_T3_mT4_P12ihipStream_tbEUlT_E1_NS1_11comp_targetILNS1_3genE5ELNS1_11target_archE942ELNS1_3gpuE9ELNS1_3repE0EEENS1_30default_config_static_selectorELNS0_4arch9wavefront6targetE0EEEvSF_.has_dyn_sized_stack, 0
	.set _ZN7rocprim17ROCPRIM_400000_NS6detail17trampoline_kernelINS0_14default_configENS1_22reduce_config_selectorIfEEZNS1_11reduce_implILb1ES3_PfS7_fN6thrust23THRUST_200600_302600_NS4plusIfEEEE10hipError_tPvRmT1_T2_T3_mT4_P12ihipStream_tbEUlT_E1_NS1_11comp_targetILNS1_3genE5ELNS1_11target_archE942ELNS1_3gpuE9ELNS1_3repE0EEENS1_30default_config_static_selectorELNS0_4arch9wavefront6targetE0EEEvSF_.has_recursion, 0
	.set _ZN7rocprim17ROCPRIM_400000_NS6detail17trampoline_kernelINS0_14default_configENS1_22reduce_config_selectorIfEEZNS1_11reduce_implILb1ES3_PfS7_fN6thrust23THRUST_200600_302600_NS4plusIfEEEE10hipError_tPvRmT1_T2_T3_mT4_P12ihipStream_tbEUlT_E1_NS1_11comp_targetILNS1_3genE5ELNS1_11target_archE942ELNS1_3gpuE9ELNS1_3repE0EEENS1_30default_config_static_selectorELNS0_4arch9wavefront6targetE0EEEvSF_.has_indirect_call, 0
	.section	.AMDGPU.csdata,"",@progbits
; Kernel info:
; codeLenInByte = 0
; TotalNumSgprs: 0
; NumVgprs: 0
; ScratchSize: 0
; MemoryBound: 0
; FloatMode: 240
; IeeeMode: 1
; LDSByteSize: 0 bytes/workgroup (compile time only)
; SGPRBlocks: 0
; VGPRBlocks: 0
; NumSGPRsForWavesPerEU: 1
; NumVGPRsForWavesPerEU: 1
; Occupancy: 16
; WaveLimiterHint : 0
; COMPUTE_PGM_RSRC2:SCRATCH_EN: 0
; COMPUTE_PGM_RSRC2:USER_SGPR: 6
; COMPUTE_PGM_RSRC2:TRAP_HANDLER: 0
; COMPUTE_PGM_RSRC2:TGID_X_EN: 1
; COMPUTE_PGM_RSRC2:TGID_Y_EN: 0
; COMPUTE_PGM_RSRC2:TGID_Z_EN: 0
; COMPUTE_PGM_RSRC2:TIDIG_COMP_CNT: 0
	.section	.text._ZN7rocprim17ROCPRIM_400000_NS6detail17trampoline_kernelINS0_14default_configENS1_22reduce_config_selectorIfEEZNS1_11reduce_implILb1ES3_PfS7_fN6thrust23THRUST_200600_302600_NS4plusIfEEEE10hipError_tPvRmT1_T2_T3_mT4_P12ihipStream_tbEUlT_E1_NS1_11comp_targetILNS1_3genE4ELNS1_11target_archE910ELNS1_3gpuE8ELNS1_3repE0EEENS1_30default_config_static_selectorELNS0_4arch9wavefront6targetE0EEEvSF_,"axG",@progbits,_ZN7rocprim17ROCPRIM_400000_NS6detail17trampoline_kernelINS0_14default_configENS1_22reduce_config_selectorIfEEZNS1_11reduce_implILb1ES3_PfS7_fN6thrust23THRUST_200600_302600_NS4plusIfEEEE10hipError_tPvRmT1_T2_T3_mT4_P12ihipStream_tbEUlT_E1_NS1_11comp_targetILNS1_3genE4ELNS1_11target_archE910ELNS1_3gpuE8ELNS1_3repE0EEENS1_30default_config_static_selectorELNS0_4arch9wavefront6targetE0EEEvSF_,comdat
	.protected	_ZN7rocprim17ROCPRIM_400000_NS6detail17trampoline_kernelINS0_14default_configENS1_22reduce_config_selectorIfEEZNS1_11reduce_implILb1ES3_PfS7_fN6thrust23THRUST_200600_302600_NS4plusIfEEEE10hipError_tPvRmT1_T2_T3_mT4_P12ihipStream_tbEUlT_E1_NS1_11comp_targetILNS1_3genE4ELNS1_11target_archE910ELNS1_3gpuE8ELNS1_3repE0EEENS1_30default_config_static_selectorELNS0_4arch9wavefront6targetE0EEEvSF_ ; -- Begin function _ZN7rocprim17ROCPRIM_400000_NS6detail17trampoline_kernelINS0_14default_configENS1_22reduce_config_selectorIfEEZNS1_11reduce_implILb1ES3_PfS7_fN6thrust23THRUST_200600_302600_NS4plusIfEEEE10hipError_tPvRmT1_T2_T3_mT4_P12ihipStream_tbEUlT_E1_NS1_11comp_targetILNS1_3genE4ELNS1_11target_archE910ELNS1_3gpuE8ELNS1_3repE0EEENS1_30default_config_static_selectorELNS0_4arch9wavefront6targetE0EEEvSF_
	.globl	_ZN7rocprim17ROCPRIM_400000_NS6detail17trampoline_kernelINS0_14default_configENS1_22reduce_config_selectorIfEEZNS1_11reduce_implILb1ES3_PfS7_fN6thrust23THRUST_200600_302600_NS4plusIfEEEE10hipError_tPvRmT1_T2_T3_mT4_P12ihipStream_tbEUlT_E1_NS1_11comp_targetILNS1_3genE4ELNS1_11target_archE910ELNS1_3gpuE8ELNS1_3repE0EEENS1_30default_config_static_selectorELNS0_4arch9wavefront6targetE0EEEvSF_
	.p2align	8
	.type	_ZN7rocprim17ROCPRIM_400000_NS6detail17trampoline_kernelINS0_14default_configENS1_22reduce_config_selectorIfEEZNS1_11reduce_implILb1ES3_PfS7_fN6thrust23THRUST_200600_302600_NS4plusIfEEEE10hipError_tPvRmT1_T2_T3_mT4_P12ihipStream_tbEUlT_E1_NS1_11comp_targetILNS1_3genE4ELNS1_11target_archE910ELNS1_3gpuE8ELNS1_3repE0EEENS1_30default_config_static_selectorELNS0_4arch9wavefront6targetE0EEEvSF_,@function
_ZN7rocprim17ROCPRIM_400000_NS6detail17trampoline_kernelINS0_14default_configENS1_22reduce_config_selectorIfEEZNS1_11reduce_implILb1ES3_PfS7_fN6thrust23THRUST_200600_302600_NS4plusIfEEEE10hipError_tPvRmT1_T2_T3_mT4_P12ihipStream_tbEUlT_E1_NS1_11comp_targetILNS1_3genE4ELNS1_11target_archE910ELNS1_3gpuE8ELNS1_3repE0EEENS1_30default_config_static_selectorELNS0_4arch9wavefront6targetE0EEEvSF_: ; @_ZN7rocprim17ROCPRIM_400000_NS6detail17trampoline_kernelINS0_14default_configENS1_22reduce_config_selectorIfEEZNS1_11reduce_implILb1ES3_PfS7_fN6thrust23THRUST_200600_302600_NS4plusIfEEEE10hipError_tPvRmT1_T2_T3_mT4_P12ihipStream_tbEUlT_E1_NS1_11comp_targetILNS1_3genE4ELNS1_11target_archE910ELNS1_3gpuE8ELNS1_3repE0EEENS1_30default_config_static_selectorELNS0_4arch9wavefront6targetE0EEEvSF_
; %bb.0:
	.section	.rodata,"a",@progbits
	.p2align	6, 0x0
	.amdhsa_kernel _ZN7rocprim17ROCPRIM_400000_NS6detail17trampoline_kernelINS0_14default_configENS1_22reduce_config_selectorIfEEZNS1_11reduce_implILb1ES3_PfS7_fN6thrust23THRUST_200600_302600_NS4plusIfEEEE10hipError_tPvRmT1_T2_T3_mT4_P12ihipStream_tbEUlT_E1_NS1_11comp_targetILNS1_3genE4ELNS1_11target_archE910ELNS1_3gpuE8ELNS1_3repE0EEENS1_30default_config_static_selectorELNS0_4arch9wavefront6targetE0EEEvSF_
		.amdhsa_group_segment_fixed_size 0
		.amdhsa_private_segment_fixed_size 0
		.amdhsa_kernarg_size 40
		.amdhsa_user_sgpr_count 6
		.amdhsa_user_sgpr_private_segment_buffer 1
		.amdhsa_user_sgpr_dispatch_ptr 0
		.amdhsa_user_sgpr_queue_ptr 0
		.amdhsa_user_sgpr_kernarg_segment_ptr 1
		.amdhsa_user_sgpr_dispatch_id 0
		.amdhsa_user_sgpr_flat_scratch_init 0
		.amdhsa_user_sgpr_private_segment_size 0
		.amdhsa_wavefront_size32 1
		.amdhsa_uses_dynamic_stack 0
		.amdhsa_system_sgpr_private_segment_wavefront_offset 0
		.amdhsa_system_sgpr_workgroup_id_x 1
		.amdhsa_system_sgpr_workgroup_id_y 0
		.amdhsa_system_sgpr_workgroup_id_z 0
		.amdhsa_system_sgpr_workgroup_info 0
		.amdhsa_system_vgpr_workitem_id 0
		.amdhsa_next_free_vgpr 1
		.amdhsa_next_free_sgpr 1
		.amdhsa_reserve_vcc 0
		.amdhsa_reserve_flat_scratch 0
		.amdhsa_float_round_mode_32 0
		.amdhsa_float_round_mode_16_64 0
		.amdhsa_float_denorm_mode_32 3
		.amdhsa_float_denorm_mode_16_64 3
		.amdhsa_dx10_clamp 1
		.amdhsa_ieee_mode 1
		.amdhsa_fp16_overflow 0
		.amdhsa_workgroup_processor_mode 1
		.amdhsa_memory_ordered 1
		.amdhsa_forward_progress 1
		.amdhsa_shared_vgpr_count 0
		.amdhsa_exception_fp_ieee_invalid_op 0
		.amdhsa_exception_fp_denorm_src 0
		.amdhsa_exception_fp_ieee_div_zero 0
		.amdhsa_exception_fp_ieee_overflow 0
		.amdhsa_exception_fp_ieee_underflow 0
		.amdhsa_exception_fp_ieee_inexact 0
		.amdhsa_exception_int_div_zero 0
	.end_amdhsa_kernel
	.section	.text._ZN7rocprim17ROCPRIM_400000_NS6detail17trampoline_kernelINS0_14default_configENS1_22reduce_config_selectorIfEEZNS1_11reduce_implILb1ES3_PfS7_fN6thrust23THRUST_200600_302600_NS4plusIfEEEE10hipError_tPvRmT1_T2_T3_mT4_P12ihipStream_tbEUlT_E1_NS1_11comp_targetILNS1_3genE4ELNS1_11target_archE910ELNS1_3gpuE8ELNS1_3repE0EEENS1_30default_config_static_selectorELNS0_4arch9wavefront6targetE0EEEvSF_,"axG",@progbits,_ZN7rocprim17ROCPRIM_400000_NS6detail17trampoline_kernelINS0_14default_configENS1_22reduce_config_selectorIfEEZNS1_11reduce_implILb1ES3_PfS7_fN6thrust23THRUST_200600_302600_NS4plusIfEEEE10hipError_tPvRmT1_T2_T3_mT4_P12ihipStream_tbEUlT_E1_NS1_11comp_targetILNS1_3genE4ELNS1_11target_archE910ELNS1_3gpuE8ELNS1_3repE0EEENS1_30default_config_static_selectorELNS0_4arch9wavefront6targetE0EEEvSF_,comdat
.Lfunc_end11:
	.size	_ZN7rocprim17ROCPRIM_400000_NS6detail17trampoline_kernelINS0_14default_configENS1_22reduce_config_selectorIfEEZNS1_11reduce_implILb1ES3_PfS7_fN6thrust23THRUST_200600_302600_NS4plusIfEEEE10hipError_tPvRmT1_T2_T3_mT4_P12ihipStream_tbEUlT_E1_NS1_11comp_targetILNS1_3genE4ELNS1_11target_archE910ELNS1_3gpuE8ELNS1_3repE0EEENS1_30default_config_static_selectorELNS0_4arch9wavefront6targetE0EEEvSF_, .Lfunc_end11-_ZN7rocprim17ROCPRIM_400000_NS6detail17trampoline_kernelINS0_14default_configENS1_22reduce_config_selectorIfEEZNS1_11reduce_implILb1ES3_PfS7_fN6thrust23THRUST_200600_302600_NS4plusIfEEEE10hipError_tPvRmT1_T2_T3_mT4_P12ihipStream_tbEUlT_E1_NS1_11comp_targetILNS1_3genE4ELNS1_11target_archE910ELNS1_3gpuE8ELNS1_3repE0EEENS1_30default_config_static_selectorELNS0_4arch9wavefront6targetE0EEEvSF_
                                        ; -- End function
	.set _ZN7rocprim17ROCPRIM_400000_NS6detail17trampoline_kernelINS0_14default_configENS1_22reduce_config_selectorIfEEZNS1_11reduce_implILb1ES3_PfS7_fN6thrust23THRUST_200600_302600_NS4plusIfEEEE10hipError_tPvRmT1_T2_T3_mT4_P12ihipStream_tbEUlT_E1_NS1_11comp_targetILNS1_3genE4ELNS1_11target_archE910ELNS1_3gpuE8ELNS1_3repE0EEENS1_30default_config_static_selectorELNS0_4arch9wavefront6targetE0EEEvSF_.num_vgpr, 0
	.set _ZN7rocprim17ROCPRIM_400000_NS6detail17trampoline_kernelINS0_14default_configENS1_22reduce_config_selectorIfEEZNS1_11reduce_implILb1ES3_PfS7_fN6thrust23THRUST_200600_302600_NS4plusIfEEEE10hipError_tPvRmT1_T2_T3_mT4_P12ihipStream_tbEUlT_E1_NS1_11comp_targetILNS1_3genE4ELNS1_11target_archE910ELNS1_3gpuE8ELNS1_3repE0EEENS1_30default_config_static_selectorELNS0_4arch9wavefront6targetE0EEEvSF_.num_agpr, 0
	.set _ZN7rocprim17ROCPRIM_400000_NS6detail17trampoline_kernelINS0_14default_configENS1_22reduce_config_selectorIfEEZNS1_11reduce_implILb1ES3_PfS7_fN6thrust23THRUST_200600_302600_NS4plusIfEEEE10hipError_tPvRmT1_T2_T3_mT4_P12ihipStream_tbEUlT_E1_NS1_11comp_targetILNS1_3genE4ELNS1_11target_archE910ELNS1_3gpuE8ELNS1_3repE0EEENS1_30default_config_static_selectorELNS0_4arch9wavefront6targetE0EEEvSF_.numbered_sgpr, 0
	.set _ZN7rocprim17ROCPRIM_400000_NS6detail17trampoline_kernelINS0_14default_configENS1_22reduce_config_selectorIfEEZNS1_11reduce_implILb1ES3_PfS7_fN6thrust23THRUST_200600_302600_NS4plusIfEEEE10hipError_tPvRmT1_T2_T3_mT4_P12ihipStream_tbEUlT_E1_NS1_11comp_targetILNS1_3genE4ELNS1_11target_archE910ELNS1_3gpuE8ELNS1_3repE0EEENS1_30default_config_static_selectorELNS0_4arch9wavefront6targetE0EEEvSF_.num_named_barrier, 0
	.set _ZN7rocprim17ROCPRIM_400000_NS6detail17trampoline_kernelINS0_14default_configENS1_22reduce_config_selectorIfEEZNS1_11reduce_implILb1ES3_PfS7_fN6thrust23THRUST_200600_302600_NS4plusIfEEEE10hipError_tPvRmT1_T2_T3_mT4_P12ihipStream_tbEUlT_E1_NS1_11comp_targetILNS1_3genE4ELNS1_11target_archE910ELNS1_3gpuE8ELNS1_3repE0EEENS1_30default_config_static_selectorELNS0_4arch9wavefront6targetE0EEEvSF_.private_seg_size, 0
	.set _ZN7rocprim17ROCPRIM_400000_NS6detail17trampoline_kernelINS0_14default_configENS1_22reduce_config_selectorIfEEZNS1_11reduce_implILb1ES3_PfS7_fN6thrust23THRUST_200600_302600_NS4plusIfEEEE10hipError_tPvRmT1_T2_T3_mT4_P12ihipStream_tbEUlT_E1_NS1_11comp_targetILNS1_3genE4ELNS1_11target_archE910ELNS1_3gpuE8ELNS1_3repE0EEENS1_30default_config_static_selectorELNS0_4arch9wavefront6targetE0EEEvSF_.uses_vcc, 0
	.set _ZN7rocprim17ROCPRIM_400000_NS6detail17trampoline_kernelINS0_14default_configENS1_22reduce_config_selectorIfEEZNS1_11reduce_implILb1ES3_PfS7_fN6thrust23THRUST_200600_302600_NS4plusIfEEEE10hipError_tPvRmT1_T2_T3_mT4_P12ihipStream_tbEUlT_E1_NS1_11comp_targetILNS1_3genE4ELNS1_11target_archE910ELNS1_3gpuE8ELNS1_3repE0EEENS1_30default_config_static_selectorELNS0_4arch9wavefront6targetE0EEEvSF_.uses_flat_scratch, 0
	.set _ZN7rocprim17ROCPRIM_400000_NS6detail17trampoline_kernelINS0_14default_configENS1_22reduce_config_selectorIfEEZNS1_11reduce_implILb1ES3_PfS7_fN6thrust23THRUST_200600_302600_NS4plusIfEEEE10hipError_tPvRmT1_T2_T3_mT4_P12ihipStream_tbEUlT_E1_NS1_11comp_targetILNS1_3genE4ELNS1_11target_archE910ELNS1_3gpuE8ELNS1_3repE0EEENS1_30default_config_static_selectorELNS0_4arch9wavefront6targetE0EEEvSF_.has_dyn_sized_stack, 0
	.set _ZN7rocprim17ROCPRIM_400000_NS6detail17trampoline_kernelINS0_14default_configENS1_22reduce_config_selectorIfEEZNS1_11reduce_implILb1ES3_PfS7_fN6thrust23THRUST_200600_302600_NS4plusIfEEEE10hipError_tPvRmT1_T2_T3_mT4_P12ihipStream_tbEUlT_E1_NS1_11comp_targetILNS1_3genE4ELNS1_11target_archE910ELNS1_3gpuE8ELNS1_3repE0EEENS1_30default_config_static_selectorELNS0_4arch9wavefront6targetE0EEEvSF_.has_recursion, 0
	.set _ZN7rocprim17ROCPRIM_400000_NS6detail17trampoline_kernelINS0_14default_configENS1_22reduce_config_selectorIfEEZNS1_11reduce_implILb1ES3_PfS7_fN6thrust23THRUST_200600_302600_NS4plusIfEEEE10hipError_tPvRmT1_T2_T3_mT4_P12ihipStream_tbEUlT_E1_NS1_11comp_targetILNS1_3genE4ELNS1_11target_archE910ELNS1_3gpuE8ELNS1_3repE0EEENS1_30default_config_static_selectorELNS0_4arch9wavefront6targetE0EEEvSF_.has_indirect_call, 0
	.section	.AMDGPU.csdata,"",@progbits
; Kernel info:
; codeLenInByte = 0
; TotalNumSgprs: 0
; NumVgprs: 0
; ScratchSize: 0
; MemoryBound: 0
; FloatMode: 240
; IeeeMode: 1
; LDSByteSize: 0 bytes/workgroup (compile time only)
; SGPRBlocks: 0
; VGPRBlocks: 0
; NumSGPRsForWavesPerEU: 1
; NumVGPRsForWavesPerEU: 1
; Occupancy: 16
; WaveLimiterHint : 0
; COMPUTE_PGM_RSRC2:SCRATCH_EN: 0
; COMPUTE_PGM_RSRC2:USER_SGPR: 6
; COMPUTE_PGM_RSRC2:TRAP_HANDLER: 0
; COMPUTE_PGM_RSRC2:TGID_X_EN: 1
; COMPUTE_PGM_RSRC2:TGID_Y_EN: 0
; COMPUTE_PGM_RSRC2:TGID_Z_EN: 0
; COMPUTE_PGM_RSRC2:TIDIG_COMP_CNT: 0
	.section	.text._ZN7rocprim17ROCPRIM_400000_NS6detail17trampoline_kernelINS0_14default_configENS1_22reduce_config_selectorIfEEZNS1_11reduce_implILb1ES3_PfS7_fN6thrust23THRUST_200600_302600_NS4plusIfEEEE10hipError_tPvRmT1_T2_T3_mT4_P12ihipStream_tbEUlT_E1_NS1_11comp_targetILNS1_3genE3ELNS1_11target_archE908ELNS1_3gpuE7ELNS1_3repE0EEENS1_30default_config_static_selectorELNS0_4arch9wavefront6targetE0EEEvSF_,"axG",@progbits,_ZN7rocprim17ROCPRIM_400000_NS6detail17trampoline_kernelINS0_14default_configENS1_22reduce_config_selectorIfEEZNS1_11reduce_implILb1ES3_PfS7_fN6thrust23THRUST_200600_302600_NS4plusIfEEEE10hipError_tPvRmT1_T2_T3_mT4_P12ihipStream_tbEUlT_E1_NS1_11comp_targetILNS1_3genE3ELNS1_11target_archE908ELNS1_3gpuE7ELNS1_3repE0EEENS1_30default_config_static_selectorELNS0_4arch9wavefront6targetE0EEEvSF_,comdat
	.protected	_ZN7rocprim17ROCPRIM_400000_NS6detail17trampoline_kernelINS0_14default_configENS1_22reduce_config_selectorIfEEZNS1_11reduce_implILb1ES3_PfS7_fN6thrust23THRUST_200600_302600_NS4plusIfEEEE10hipError_tPvRmT1_T2_T3_mT4_P12ihipStream_tbEUlT_E1_NS1_11comp_targetILNS1_3genE3ELNS1_11target_archE908ELNS1_3gpuE7ELNS1_3repE0EEENS1_30default_config_static_selectorELNS0_4arch9wavefront6targetE0EEEvSF_ ; -- Begin function _ZN7rocprim17ROCPRIM_400000_NS6detail17trampoline_kernelINS0_14default_configENS1_22reduce_config_selectorIfEEZNS1_11reduce_implILb1ES3_PfS7_fN6thrust23THRUST_200600_302600_NS4plusIfEEEE10hipError_tPvRmT1_T2_T3_mT4_P12ihipStream_tbEUlT_E1_NS1_11comp_targetILNS1_3genE3ELNS1_11target_archE908ELNS1_3gpuE7ELNS1_3repE0EEENS1_30default_config_static_selectorELNS0_4arch9wavefront6targetE0EEEvSF_
	.globl	_ZN7rocprim17ROCPRIM_400000_NS6detail17trampoline_kernelINS0_14default_configENS1_22reduce_config_selectorIfEEZNS1_11reduce_implILb1ES3_PfS7_fN6thrust23THRUST_200600_302600_NS4plusIfEEEE10hipError_tPvRmT1_T2_T3_mT4_P12ihipStream_tbEUlT_E1_NS1_11comp_targetILNS1_3genE3ELNS1_11target_archE908ELNS1_3gpuE7ELNS1_3repE0EEENS1_30default_config_static_selectorELNS0_4arch9wavefront6targetE0EEEvSF_
	.p2align	8
	.type	_ZN7rocprim17ROCPRIM_400000_NS6detail17trampoline_kernelINS0_14default_configENS1_22reduce_config_selectorIfEEZNS1_11reduce_implILb1ES3_PfS7_fN6thrust23THRUST_200600_302600_NS4plusIfEEEE10hipError_tPvRmT1_T2_T3_mT4_P12ihipStream_tbEUlT_E1_NS1_11comp_targetILNS1_3genE3ELNS1_11target_archE908ELNS1_3gpuE7ELNS1_3repE0EEENS1_30default_config_static_selectorELNS0_4arch9wavefront6targetE0EEEvSF_,@function
_ZN7rocprim17ROCPRIM_400000_NS6detail17trampoline_kernelINS0_14default_configENS1_22reduce_config_selectorIfEEZNS1_11reduce_implILb1ES3_PfS7_fN6thrust23THRUST_200600_302600_NS4plusIfEEEE10hipError_tPvRmT1_T2_T3_mT4_P12ihipStream_tbEUlT_E1_NS1_11comp_targetILNS1_3genE3ELNS1_11target_archE908ELNS1_3gpuE7ELNS1_3repE0EEENS1_30default_config_static_selectorELNS0_4arch9wavefront6targetE0EEEvSF_: ; @_ZN7rocprim17ROCPRIM_400000_NS6detail17trampoline_kernelINS0_14default_configENS1_22reduce_config_selectorIfEEZNS1_11reduce_implILb1ES3_PfS7_fN6thrust23THRUST_200600_302600_NS4plusIfEEEE10hipError_tPvRmT1_T2_T3_mT4_P12ihipStream_tbEUlT_E1_NS1_11comp_targetILNS1_3genE3ELNS1_11target_archE908ELNS1_3gpuE7ELNS1_3repE0EEENS1_30default_config_static_selectorELNS0_4arch9wavefront6targetE0EEEvSF_
; %bb.0:
	.section	.rodata,"a",@progbits
	.p2align	6, 0x0
	.amdhsa_kernel _ZN7rocprim17ROCPRIM_400000_NS6detail17trampoline_kernelINS0_14default_configENS1_22reduce_config_selectorIfEEZNS1_11reduce_implILb1ES3_PfS7_fN6thrust23THRUST_200600_302600_NS4plusIfEEEE10hipError_tPvRmT1_T2_T3_mT4_P12ihipStream_tbEUlT_E1_NS1_11comp_targetILNS1_3genE3ELNS1_11target_archE908ELNS1_3gpuE7ELNS1_3repE0EEENS1_30default_config_static_selectorELNS0_4arch9wavefront6targetE0EEEvSF_
		.amdhsa_group_segment_fixed_size 0
		.amdhsa_private_segment_fixed_size 0
		.amdhsa_kernarg_size 40
		.amdhsa_user_sgpr_count 6
		.amdhsa_user_sgpr_private_segment_buffer 1
		.amdhsa_user_sgpr_dispatch_ptr 0
		.amdhsa_user_sgpr_queue_ptr 0
		.amdhsa_user_sgpr_kernarg_segment_ptr 1
		.amdhsa_user_sgpr_dispatch_id 0
		.amdhsa_user_sgpr_flat_scratch_init 0
		.amdhsa_user_sgpr_private_segment_size 0
		.amdhsa_wavefront_size32 1
		.amdhsa_uses_dynamic_stack 0
		.amdhsa_system_sgpr_private_segment_wavefront_offset 0
		.amdhsa_system_sgpr_workgroup_id_x 1
		.amdhsa_system_sgpr_workgroup_id_y 0
		.amdhsa_system_sgpr_workgroup_id_z 0
		.amdhsa_system_sgpr_workgroup_info 0
		.amdhsa_system_vgpr_workitem_id 0
		.amdhsa_next_free_vgpr 1
		.amdhsa_next_free_sgpr 1
		.amdhsa_reserve_vcc 0
		.amdhsa_reserve_flat_scratch 0
		.amdhsa_float_round_mode_32 0
		.amdhsa_float_round_mode_16_64 0
		.amdhsa_float_denorm_mode_32 3
		.amdhsa_float_denorm_mode_16_64 3
		.amdhsa_dx10_clamp 1
		.amdhsa_ieee_mode 1
		.amdhsa_fp16_overflow 0
		.amdhsa_workgroup_processor_mode 1
		.amdhsa_memory_ordered 1
		.amdhsa_forward_progress 1
		.amdhsa_shared_vgpr_count 0
		.amdhsa_exception_fp_ieee_invalid_op 0
		.amdhsa_exception_fp_denorm_src 0
		.amdhsa_exception_fp_ieee_div_zero 0
		.amdhsa_exception_fp_ieee_overflow 0
		.amdhsa_exception_fp_ieee_underflow 0
		.amdhsa_exception_fp_ieee_inexact 0
		.amdhsa_exception_int_div_zero 0
	.end_amdhsa_kernel
	.section	.text._ZN7rocprim17ROCPRIM_400000_NS6detail17trampoline_kernelINS0_14default_configENS1_22reduce_config_selectorIfEEZNS1_11reduce_implILb1ES3_PfS7_fN6thrust23THRUST_200600_302600_NS4plusIfEEEE10hipError_tPvRmT1_T2_T3_mT4_P12ihipStream_tbEUlT_E1_NS1_11comp_targetILNS1_3genE3ELNS1_11target_archE908ELNS1_3gpuE7ELNS1_3repE0EEENS1_30default_config_static_selectorELNS0_4arch9wavefront6targetE0EEEvSF_,"axG",@progbits,_ZN7rocprim17ROCPRIM_400000_NS6detail17trampoline_kernelINS0_14default_configENS1_22reduce_config_selectorIfEEZNS1_11reduce_implILb1ES3_PfS7_fN6thrust23THRUST_200600_302600_NS4plusIfEEEE10hipError_tPvRmT1_T2_T3_mT4_P12ihipStream_tbEUlT_E1_NS1_11comp_targetILNS1_3genE3ELNS1_11target_archE908ELNS1_3gpuE7ELNS1_3repE0EEENS1_30default_config_static_selectorELNS0_4arch9wavefront6targetE0EEEvSF_,comdat
.Lfunc_end12:
	.size	_ZN7rocprim17ROCPRIM_400000_NS6detail17trampoline_kernelINS0_14default_configENS1_22reduce_config_selectorIfEEZNS1_11reduce_implILb1ES3_PfS7_fN6thrust23THRUST_200600_302600_NS4plusIfEEEE10hipError_tPvRmT1_T2_T3_mT4_P12ihipStream_tbEUlT_E1_NS1_11comp_targetILNS1_3genE3ELNS1_11target_archE908ELNS1_3gpuE7ELNS1_3repE0EEENS1_30default_config_static_selectorELNS0_4arch9wavefront6targetE0EEEvSF_, .Lfunc_end12-_ZN7rocprim17ROCPRIM_400000_NS6detail17trampoline_kernelINS0_14default_configENS1_22reduce_config_selectorIfEEZNS1_11reduce_implILb1ES3_PfS7_fN6thrust23THRUST_200600_302600_NS4plusIfEEEE10hipError_tPvRmT1_T2_T3_mT4_P12ihipStream_tbEUlT_E1_NS1_11comp_targetILNS1_3genE3ELNS1_11target_archE908ELNS1_3gpuE7ELNS1_3repE0EEENS1_30default_config_static_selectorELNS0_4arch9wavefront6targetE0EEEvSF_
                                        ; -- End function
	.set _ZN7rocprim17ROCPRIM_400000_NS6detail17trampoline_kernelINS0_14default_configENS1_22reduce_config_selectorIfEEZNS1_11reduce_implILb1ES3_PfS7_fN6thrust23THRUST_200600_302600_NS4plusIfEEEE10hipError_tPvRmT1_T2_T3_mT4_P12ihipStream_tbEUlT_E1_NS1_11comp_targetILNS1_3genE3ELNS1_11target_archE908ELNS1_3gpuE7ELNS1_3repE0EEENS1_30default_config_static_selectorELNS0_4arch9wavefront6targetE0EEEvSF_.num_vgpr, 0
	.set _ZN7rocprim17ROCPRIM_400000_NS6detail17trampoline_kernelINS0_14default_configENS1_22reduce_config_selectorIfEEZNS1_11reduce_implILb1ES3_PfS7_fN6thrust23THRUST_200600_302600_NS4plusIfEEEE10hipError_tPvRmT1_T2_T3_mT4_P12ihipStream_tbEUlT_E1_NS1_11comp_targetILNS1_3genE3ELNS1_11target_archE908ELNS1_3gpuE7ELNS1_3repE0EEENS1_30default_config_static_selectorELNS0_4arch9wavefront6targetE0EEEvSF_.num_agpr, 0
	.set _ZN7rocprim17ROCPRIM_400000_NS6detail17trampoline_kernelINS0_14default_configENS1_22reduce_config_selectorIfEEZNS1_11reduce_implILb1ES3_PfS7_fN6thrust23THRUST_200600_302600_NS4plusIfEEEE10hipError_tPvRmT1_T2_T3_mT4_P12ihipStream_tbEUlT_E1_NS1_11comp_targetILNS1_3genE3ELNS1_11target_archE908ELNS1_3gpuE7ELNS1_3repE0EEENS1_30default_config_static_selectorELNS0_4arch9wavefront6targetE0EEEvSF_.numbered_sgpr, 0
	.set _ZN7rocprim17ROCPRIM_400000_NS6detail17trampoline_kernelINS0_14default_configENS1_22reduce_config_selectorIfEEZNS1_11reduce_implILb1ES3_PfS7_fN6thrust23THRUST_200600_302600_NS4plusIfEEEE10hipError_tPvRmT1_T2_T3_mT4_P12ihipStream_tbEUlT_E1_NS1_11comp_targetILNS1_3genE3ELNS1_11target_archE908ELNS1_3gpuE7ELNS1_3repE0EEENS1_30default_config_static_selectorELNS0_4arch9wavefront6targetE0EEEvSF_.num_named_barrier, 0
	.set _ZN7rocprim17ROCPRIM_400000_NS6detail17trampoline_kernelINS0_14default_configENS1_22reduce_config_selectorIfEEZNS1_11reduce_implILb1ES3_PfS7_fN6thrust23THRUST_200600_302600_NS4plusIfEEEE10hipError_tPvRmT1_T2_T3_mT4_P12ihipStream_tbEUlT_E1_NS1_11comp_targetILNS1_3genE3ELNS1_11target_archE908ELNS1_3gpuE7ELNS1_3repE0EEENS1_30default_config_static_selectorELNS0_4arch9wavefront6targetE0EEEvSF_.private_seg_size, 0
	.set _ZN7rocprim17ROCPRIM_400000_NS6detail17trampoline_kernelINS0_14default_configENS1_22reduce_config_selectorIfEEZNS1_11reduce_implILb1ES3_PfS7_fN6thrust23THRUST_200600_302600_NS4plusIfEEEE10hipError_tPvRmT1_T2_T3_mT4_P12ihipStream_tbEUlT_E1_NS1_11comp_targetILNS1_3genE3ELNS1_11target_archE908ELNS1_3gpuE7ELNS1_3repE0EEENS1_30default_config_static_selectorELNS0_4arch9wavefront6targetE0EEEvSF_.uses_vcc, 0
	.set _ZN7rocprim17ROCPRIM_400000_NS6detail17trampoline_kernelINS0_14default_configENS1_22reduce_config_selectorIfEEZNS1_11reduce_implILb1ES3_PfS7_fN6thrust23THRUST_200600_302600_NS4plusIfEEEE10hipError_tPvRmT1_T2_T3_mT4_P12ihipStream_tbEUlT_E1_NS1_11comp_targetILNS1_3genE3ELNS1_11target_archE908ELNS1_3gpuE7ELNS1_3repE0EEENS1_30default_config_static_selectorELNS0_4arch9wavefront6targetE0EEEvSF_.uses_flat_scratch, 0
	.set _ZN7rocprim17ROCPRIM_400000_NS6detail17trampoline_kernelINS0_14default_configENS1_22reduce_config_selectorIfEEZNS1_11reduce_implILb1ES3_PfS7_fN6thrust23THRUST_200600_302600_NS4plusIfEEEE10hipError_tPvRmT1_T2_T3_mT4_P12ihipStream_tbEUlT_E1_NS1_11comp_targetILNS1_3genE3ELNS1_11target_archE908ELNS1_3gpuE7ELNS1_3repE0EEENS1_30default_config_static_selectorELNS0_4arch9wavefront6targetE0EEEvSF_.has_dyn_sized_stack, 0
	.set _ZN7rocprim17ROCPRIM_400000_NS6detail17trampoline_kernelINS0_14default_configENS1_22reduce_config_selectorIfEEZNS1_11reduce_implILb1ES3_PfS7_fN6thrust23THRUST_200600_302600_NS4plusIfEEEE10hipError_tPvRmT1_T2_T3_mT4_P12ihipStream_tbEUlT_E1_NS1_11comp_targetILNS1_3genE3ELNS1_11target_archE908ELNS1_3gpuE7ELNS1_3repE0EEENS1_30default_config_static_selectorELNS0_4arch9wavefront6targetE0EEEvSF_.has_recursion, 0
	.set _ZN7rocprim17ROCPRIM_400000_NS6detail17trampoline_kernelINS0_14default_configENS1_22reduce_config_selectorIfEEZNS1_11reduce_implILb1ES3_PfS7_fN6thrust23THRUST_200600_302600_NS4plusIfEEEE10hipError_tPvRmT1_T2_T3_mT4_P12ihipStream_tbEUlT_E1_NS1_11comp_targetILNS1_3genE3ELNS1_11target_archE908ELNS1_3gpuE7ELNS1_3repE0EEENS1_30default_config_static_selectorELNS0_4arch9wavefront6targetE0EEEvSF_.has_indirect_call, 0
	.section	.AMDGPU.csdata,"",@progbits
; Kernel info:
; codeLenInByte = 0
; TotalNumSgprs: 0
; NumVgprs: 0
; ScratchSize: 0
; MemoryBound: 0
; FloatMode: 240
; IeeeMode: 1
; LDSByteSize: 0 bytes/workgroup (compile time only)
; SGPRBlocks: 0
; VGPRBlocks: 0
; NumSGPRsForWavesPerEU: 1
; NumVGPRsForWavesPerEU: 1
; Occupancy: 16
; WaveLimiterHint : 0
; COMPUTE_PGM_RSRC2:SCRATCH_EN: 0
; COMPUTE_PGM_RSRC2:USER_SGPR: 6
; COMPUTE_PGM_RSRC2:TRAP_HANDLER: 0
; COMPUTE_PGM_RSRC2:TGID_X_EN: 1
; COMPUTE_PGM_RSRC2:TGID_Y_EN: 0
; COMPUTE_PGM_RSRC2:TGID_Z_EN: 0
; COMPUTE_PGM_RSRC2:TIDIG_COMP_CNT: 0
	.section	.text._ZN7rocprim17ROCPRIM_400000_NS6detail17trampoline_kernelINS0_14default_configENS1_22reduce_config_selectorIfEEZNS1_11reduce_implILb1ES3_PfS7_fN6thrust23THRUST_200600_302600_NS4plusIfEEEE10hipError_tPvRmT1_T2_T3_mT4_P12ihipStream_tbEUlT_E1_NS1_11comp_targetILNS1_3genE2ELNS1_11target_archE906ELNS1_3gpuE6ELNS1_3repE0EEENS1_30default_config_static_selectorELNS0_4arch9wavefront6targetE0EEEvSF_,"axG",@progbits,_ZN7rocprim17ROCPRIM_400000_NS6detail17trampoline_kernelINS0_14default_configENS1_22reduce_config_selectorIfEEZNS1_11reduce_implILb1ES3_PfS7_fN6thrust23THRUST_200600_302600_NS4plusIfEEEE10hipError_tPvRmT1_T2_T3_mT4_P12ihipStream_tbEUlT_E1_NS1_11comp_targetILNS1_3genE2ELNS1_11target_archE906ELNS1_3gpuE6ELNS1_3repE0EEENS1_30default_config_static_selectorELNS0_4arch9wavefront6targetE0EEEvSF_,comdat
	.protected	_ZN7rocprim17ROCPRIM_400000_NS6detail17trampoline_kernelINS0_14default_configENS1_22reduce_config_selectorIfEEZNS1_11reduce_implILb1ES3_PfS7_fN6thrust23THRUST_200600_302600_NS4plusIfEEEE10hipError_tPvRmT1_T2_T3_mT4_P12ihipStream_tbEUlT_E1_NS1_11comp_targetILNS1_3genE2ELNS1_11target_archE906ELNS1_3gpuE6ELNS1_3repE0EEENS1_30default_config_static_selectorELNS0_4arch9wavefront6targetE0EEEvSF_ ; -- Begin function _ZN7rocprim17ROCPRIM_400000_NS6detail17trampoline_kernelINS0_14default_configENS1_22reduce_config_selectorIfEEZNS1_11reduce_implILb1ES3_PfS7_fN6thrust23THRUST_200600_302600_NS4plusIfEEEE10hipError_tPvRmT1_T2_T3_mT4_P12ihipStream_tbEUlT_E1_NS1_11comp_targetILNS1_3genE2ELNS1_11target_archE906ELNS1_3gpuE6ELNS1_3repE0EEENS1_30default_config_static_selectorELNS0_4arch9wavefront6targetE0EEEvSF_
	.globl	_ZN7rocprim17ROCPRIM_400000_NS6detail17trampoline_kernelINS0_14default_configENS1_22reduce_config_selectorIfEEZNS1_11reduce_implILb1ES3_PfS7_fN6thrust23THRUST_200600_302600_NS4plusIfEEEE10hipError_tPvRmT1_T2_T3_mT4_P12ihipStream_tbEUlT_E1_NS1_11comp_targetILNS1_3genE2ELNS1_11target_archE906ELNS1_3gpuE6ELNS1_3repE0EEENS1_30default_config_static_selectorELNS0_4arch9wavefront6targetE0EEEvSF_
	.p2align	8
	.type	_ZN7rocprim17ROCPRIM_400000_NS6detail17trampoline_kernelINS0_14default_configENS1_22reduce_config_selectorIfEEZNS1_11reduce_implILb1ES3_PfS7_fN6thrust23THRUST_200600_302600_NS4plusIfEEEE10hipError_tPvRmT1_T2_T3_mT4_P12ihipStream_tbEUlT_E1_NS1_11comp_targetILNS1_3genE2ELNS1_11target_archE906ELNS1_3gpuE6ELNS1_3repE0EEENS1_30default_config_static_selectorELNS0_4arch9wavefront6targetE0EEEvSF_,@function
_ZN7rocprim17ROCPRIM_400000_NS6detail17trampoline_kernelINS0_14default_configENS1_22reduce_config_selectorIfEEZNS1_11reduce_implILb1ES3_PfS7_fN6thrust23THRUST_200600_302600_NS4plusIfEEEE10hipError_tPvRmT1_T2_T3_mT4_P12ihipStream_tbEUlT_E1_NS1_11comp_targetILNS1_3genE2ELNS1_11target_archE906ELNS1_3gpuE6ELNS1_3repE0EEENS1_30default_config_static_selectorELNS0_4arch9wavefront6targetE0EEEvSF_: ; @_ZN7rocprim17ROCPRIM_400000_NS6detail17trampoline_kernelINS0_14default_configENS1_22reduce_config_selectorIfEEZNS1_11reduce_implILb1ES3_PfS7_fN6thrust23THRUST_200600_302600_NS4plusIfEEEE10hipError_tPvRmT1_T2_T3_mT4_P12ihipStream_tbEUlT_E1_NS1_11comp_targetILNS1_3genE2ELNS1_11target_archE906ELNS1_3gpuE6ELNS1_3repE0EEENS1_30default_config_static_selectorELNS0_4arch9wavefront6targetE0EEEvSF_
; %bb.0:
	.section	.rodata,"a",@progbits
	.p2align	6, 0x0
	.amdhsa_kernel _ZN7rocprim17ROCPRIM_400000_NS6detail17trampoline_kernelINS0_14default_configENS1_22reduce_config_selectorIfEEZNS1_11reduce_implILb1ES3_PfS7_fN6thrust23THRUST_200600_302600_NS4plusIfEEEE10hipError_tPvRmT1_T2_T3_mT4_P12ihipStream_tbEUlT_E1_NS1_11comp_targetILNS1_3genE2ELNS1_11target_archE906ELNS1_3gpuE6ELNS1_3repE0EEENS1_30default_config_static_selectorELNS0_4arch9wavefront6targetE0EEEvSF_
		.amdhsa_group_segment_fixed_size 0
		.amdhsa_private_segment_fixed_size 0
		.amdhsa_kernarg_size 40
		.amdhsa_user_sgpr_count 6
		.amdhsa_user_sgpr_private_segment_buffer 1
		.amdhsa_user_sgpr_dispatch_ptr 0
		.amdhsa_user_sgpr_queue_ptr 0
		.amdhsa_user_sgpr_kernarg_segment_ptr 1
		.amdhsa_user_sgpr_dispatch_id 0
		.amdhsa_user_sgpr_flat_scratch_init 0
		.amdhsa_user_sgpr_private_segment_size 0
		.amdhsa_wavefront_size32 1
		.amdhsa_uses_dynamic_stack 0
		.amdhsa_system_sgpr_private_segment_wavefront_offset 0
		.amdhsa_system_sgpr_workgroup_id_x 1
		.amdhsa_system_sgpr_workgroup_id_y 0
		.amdhsa_system_sgpr_workgroup_id_z 0
		.amdhsa_system_sgpr_workgroup_info 0
		.amdhsa_system_vgpr_workitem_id 0
		.amdhsa_next_free_vgpr 1
		.amdhsa_next_free_sgpr 1
		.amdhsa_reserve_vcc 0
		.amdhsa_reserve_flat_scratch 0
		.amdhsa_float_round_mode_32 0
		.amdhsa_float_round_mode_16_64 0
		.amdhsa_float_denorm_mode_32 3
		.amdhsa_float_denorm_mode_16_64 3
		.amdhsa_dx10_clamp 1
		.amdhsa_ieee_mode 1
		.amdhsa_fp16_overflow 0
		.amdhsa_workgroup_processor_mode 1
		.amdhsa_memory_ordered 1
		.amdhsa_forward_progress 1
		.amdhsa_shared_vgpr_count 0
		.amdhsa_exception_fp_ieee_invalid_op 0
		.amdhsa_exception_fp_denorm_src 0
		.amdhsa_exception_fp_ieee_div_zero 0
		.amdhsa_exception_fp_ieee_overflow 0
		.amdhsa_exception_fp_ieee_underflow 0
		.amdhsa_exception_fp_ieee_inexact 0
		.amdhsa_exception_int_div_zero 0
	.end_amdhsa_kernel
	.section	.text._ZN7rocprim17ROCPRIM_400000_NS6detail17trampoline_kernelINS0_14default_configENS1_22reduce_config_selectorIfEEZNS1_11reduce_implILb1ES3_PfS7_fN6thrust23THRUST_200600_302600_NS4plusIfEEEE10hipError_tPvRmT1_T2_T3_mT4_P12ihipStream_tbEUlT_E1_NS1_11comp_targetILNS1_3genE2ELNS1_11target_archE906ELNS1_3gpuE6ELNS1_3repE0EEENS1_30default_config_static_selectorELNS0_4arch9wavefront6targetE0EEEvSF_,"axG",@progbits,_ZN7rocprim17ROCPRIM_400000_NS6detail17trampoline_kernelINS0_14default_configENS1_22reduce_config_selectorIfEEZNS1_11reduce_implILb1ES3_PfS7_fN6thrust23THRUST_200600_302600_NS4plusIfEEEE10hipError_tPvRmT1_T2_T3_mT4_P12ihipStream_tbEUlT_E1_NS1_11comp_targetILNS1_3genE2ELNS1_11target_archE906ELNS1_3gpuE6ELNS1_3repE0EEENS1_30default_config_static_selectorELNS0_4arch9wavefront6targetE0EEEvSF_,comdat
.Lfunc_end13:
	.size	_ZN7rocprim17ROCPRIM_400000_NS6detail17trampoline_kernelINS0_14default_configENS1_22reduce_config_selectorIfEEZNS1_11reduce_implILb1ES3_PfS7_fN6thrust23THRUST_200600_302600_NS4plusIfEEEE10hipError_tPvRmT1_T2_T3_mT4_P12ihipStream_tbEUlT_E1_NS1_11comp_targetILNS1_3genE2ELNS1_11target_archE906ELNS1_3gpuE6ELNS1_3repE0EEENS1_30default_config_static_selectorELNS0_4arch9wavefront6targetE0EEEvSF_, .Lfunc_end13-_ZN7rocprim17ROCPRIM_400000_NS6detail17trampoline_kernelINS0_14default_configENS1_22reduce_config_selectorIfEEZNS1_11reduce_implILb1ES3_PfS7_fN6thrust23THRUST_200600_302600_NS4plusIfEEEE10hipError_tPvRmT1_T2_T3_mT4_P12ihipStream_tbEUlT_E1_NS1_11comp_targetILNS1_3genE2ELNS1_11target_archE906ELNS1_3gpuE6ELNS1_3repE0EEENS1_30default_config_static_selectorELNS0_4arch9wavefront6targetE0EEEvSF_
                                        ; -- End function
	.set _ZN7rocprim17ROCPRIM_400000_NS6detail17trampoline_kernelINS0_14default_configENS1_22reduce_config_selectorIfEEZNS1_11reduce_implILb1ES3_PfS7_fN6thrust23THRUST_200600_302600_NS4plusIfEEEE10hipError_tPvRmT1_T2_T3_mT4_P12ihipStream_tbEUlT_E1_NS1_11comp_targetILNS1_3genE2ELNS1_11target_archE906ELNS1_3gpuE6ELNS1_3repE0EEENS1_30default_config_static_selectorELNS0_4arch9wavefront6targetE0EEEvSF_.num_vgpr, 0
	.set _ZN7rocprim17ROCPRIM_400000_NS6detail17trampoline_kernelINS0_14default_configENS1_22reduce_config_selectorIfEEZNS1_11reduce_implILb1ES3_PfS7_fN6thrust23THRUST_200600_302600_NS4plusIfEEEE10hipError_tPvRmT1_T2_T3_mT4_P12ihipStream_tbEUlT_E1_NS1_11comp_targetILNS1_3genE2ELNS1_11target_archE906ELNS1_3gpuE6ELNS1_3repE0EEENS1_30default_config_static_selectorELNS0_4arch9wavefront6targetE0EEEvSF_.num_agpr, 0
	.set _ZN7rocprim17ROCPRIM_400000_NS6detail17trampoline_kernelINS0_14default_configENS1_22reduce_config_selectorIfEEZNS1_11reduce_implILb1ES3_PfS7_fN6thrust23THRUST_200600_302600_NS4plusIfEEEE10hipError_tPvRmT1_T2_T3_mT4_P12ihipStream_tbEUlT_E1_NS1_11comp_targetILNS1_3genE2ELNS1_11target_archE906ELNS1_3gpuE6ELNS1_3repE0EEENS1_30default_config_static_selectorELNS0_4arch9wavefront6targetE0EEEvSF_.numbered_sgpr, 0
	.set _ZN7rocprim17ROCPRIM_400000_NS6detail17trampoline_kernelINS0_14default_configENS1_22reduce_config_selectorIfEEZNS1_11reduce_implILb1ES3_PfS7_fN6thrust23THRUST_200600_302600_NS4plusIfEEEE10hipError_tPvRmT1_T2_T3_mT4_P12ihipStream_tbEUlT_E1_NS1_11comp_targetILNS1_3genE2ELNS1_11target_archE906ELNS1_3gpuE6ELNS1_3repE0EEENS1_30default_config_static_selectorELNS0_4arch9wavefront6targetE0EEEvSF_.num_named_barrier, 0
	.set _ZN7rocprim17ROCPRIM_400000_NS6detail17trampoline_kernelINS0_14default_configENS1_22reduce_config_selectorIfEEZNS1_11reduce_implILb1ES3_PfS7_fN6thrust23THRUST_200600_302600_NS4plusIfEEEE10hipError_tPvRmT1_T2_T3_mT4_P12ihipStream_tbEUlT_E1_NS1_11comp_targetILNS1_3genE2ELNS1_11target_archE906ELNS1_3gpuE6ELNS1_3repE0EEENS1_30default_config_static_selectorELNS0_4arch9wavefront6targetE0EEEvSF_.private_seg_size, 0
	.set _ZN7rocprim17ROCPRIM_400000_NS6detail17trampoline_kernelINS0_14default_configENS1_22reduce_config_selectorIfEEZNS1_11reduce_implILb1ES3_PfS7_fN6thrust23THRUST_200600_302600_NS4plusIfEEEE10hipError_tPvRmT1_T2_T3_mT4_P12ihipStream_tbEUlT_E1_NS1_11comp_targetILNS1_3genE2ELNS1_11target_archE906ELNS1_3gpuE6ELNS1_3repE0EEENS1_30default_config_static_selectorELNS0_4arch9wavefront6targetE0EEEvSF_.uses_vcc, 0
	.set _ZN7rocprim17ROCPRIM_400000_NS6detail17trampoline_kernelINS0_14default_configENS1_22reduce_config_selectorIfEEZNS1_11reduce_implILb1ES3_PfS7_fN6thrust23THRUST_200600_302600_NS4plusIfEEEE10hipError_tPvRmT1_T2_T3_mT4_P12ihipStream_tbEUlT_E1_NS1_11comp_targetILNS1_3genE2ELNS1_11target_archE906ELNS1_3gpuE6ELNS1_3repE0EEENS1_30default_config_static_selectorELNS0_4arch9wavefront6targetE0EEEvSF_.uses_flat_scratch, 0
	.set _ZN7rocprim17ROCPRIM_400000_NS6detail17trampoline_kernelINS0_14default_configENS1_22reduce_config_selectorIfEEZNS1_11reduce_implILb1ES3_PfS7_fN6thrust23THRUST_200600_302600_NS4plusIfEEEE10hipError_tPvRmT1_T2_T3_mT4_P12ihipStream_tbEUlT_E1_NS1_11comp_targetILNS1_3genE2ELNS1_11target_archE906ELNS1_3gpuE6ELNS1_3repE0EEENS1_30default_config_static_selectorELNS0_4arch9wavefront6targetE0EEEvSF_.has_dyn_sized_stack, 0
	.set _ZN7rocprim17ROCPRIM_400000_NS6detail17trampoline_kernelINS0_14default_configENS1_22reduce_config_selectorIfEEZNS1_11reduce_implILb1ES3_PfS7_fN6thrust23THRUST_200600_302600_NS4plusIfEEEE10hipError_tPvRmT1_T2_T3_mT4_P12ihipStream_tbEUlT_E1_NS1_11comp_targetILNS1_3genE2ELNS1_11target_archE906ELNS1_3gpuE6ELNS1_3repE0EEENS1_30default_config_static_selectorELNS0_4arch9wavefront6targetE0EEEvSF_.has_recursion, 0
	.set _ZN7rocprim17ROCPRIM_400000_NS6detail17trampoline_kernelINS0_14default_configENS1_22reduce_config_selectorIfEEZNS1_11reduce_implILb1ES3_PfS7_fN6thrust23THRUST_200600_302600_NS4plusIfEEEE10hipError_tPvRmT1_T2_T3_mT4_P12ihipStream_tbEUlT_E1_NS1_11comp_targetILNS1_3genE2ELNS1_11target_archE906ELNS1_3gpuE6ELNS1_3repE0EEENS1_30default_config_static_selectorELNS0_4arch9wavefront6targetE0EEEvSF_.has_indirect_call, 0
	.section	.AMDGPU.csdata,"",@progbits
; Kernel info:
; codeLenInByte = 0
; TotalNumSgprs: 0
; NumVgprs: 0
; ScratchSize: 0
; MemoryBound: 0
; FloatMode: 240
; IeeeMode: 1
; LDSByteSize: 0 bytes/workgroup (compile time only)
; SGPRBlocks: 0
; VGPRBlocks: 0
; NumSGPRsForWavesPerEU: 1
; NumVGPRsForWavesPerEU: 1
; Occupancy: 16
; WaveLimiterHint : 0
; COMPUTE_PGM_RSRC2:SCRATCH_EN: 0
; COMPUTE_PGM_RSRC2:USER_SGPR: 6
; COMPUTE_PGM_RSRC2:TRAP_HANDLER: 0
; COMPUTE_PGM_RSRC2:TGID_X_EN: 1
; COMPUTE_PGM_RSRC2:TGID_Y_EN: 0
; COMPUTE_PGM_RSRC2:TGID_Z_EN: 0
; COMPUTE_PGM_RSRC2:TIDIG_COMP_CNT: 0
	.section	.text._ZN7rocprim17ROCPRIM_400000_NS6detail17trampoline_kernelINS0_14default_configENS1_22reduce_config_selectorIfEEZNS1_11reduce_implILb1ES3_PfS7_fN6thrust23THRUST_200600_302600_NS4plusIfEEEE10hipError_tPvRmT1_T2_T3_mT4_P12ihipStream_tbEUlT_E1_NS1_11comp_targetILNS1_3genE10ELNS1_11target_archE1201ELNS1_3gpuE5ELNS1_3repE0EEENS1_30default_config_static_selectorELNS0_4arch9wavefront6targetE0EEEvSF_,"axG",@progbits,_ZN7rocprim17ROCPRIM_400000_NS6detail17trampoline_kernelINS0_14default_configENS1_22reduce_config_selectorIfEEZNS1_11reduce_implILb1ES3_PfS7_fN6thrust23THRUST_200600_302600_NS4plusIfEEEE10hipError_tPvRmT1_T2_T3_mT4_P12ihipStream_tbEUlT_E1_NS1_11comp_targetILNS1_3genE10ELNS1_11target_archE1201ELNS1_3gpuE5ELNS1_3repE0EEENS1_30default_config_static_selectorELNS0_4arch9wavefront6targetE0EEEvSF_,comdat
	.protected	_ZN7rocprim17ROCPRIM_400000_NS6detail17trampoline_kernelINS0_14default_configENS1_22reduce_config_selectorIfEEZNS1_11reduce_implILb1ES3_PfS7_fN6thrust23THRUST_200600_302600_NS4plusIfEEEE10hipError_tPvRmT1_T2_T3_mT4_P12ihipStream_tbEUlT_E1_NS1_11comp_targetILNS1_3genE10ELNS1_11target_archE1201ELNS1_3gpuE5ELNS1_3repE0EEENS1_30default_config_static_selectorELNS0_4arch9wavefront6targetE0EEEvSF_ ; -- Begin function _ZN7rocprim17ROCPRIM_400000_NS6detail17trampoline_kernelINS0_14default_configENS1_22reduce_config_selectorIfEEZNS1_11reduce_implILb1ES3_PfS7_fN6thrust23THRUST_200600_302600_NS4plusIfEEEE10hipError_tPvRmT1_T2_T3_mT4_P12ihipStream_tbEUlT_E1_NS1_11comp_targetILNS1_3genE10ELNS1_11target_archE1201ELNS1_3gpuE5ELNS1_3repE0EEENS1_30default_config_static_selectorELNS0_4arch9wavefront6targetE0EEEvSF_
	.globl	_ZN7rocprim17ROCPRIM_400000_NS6detail17trampoline_kernelINS0_14default_configENS1_22reduce_config_selectorIfEEZNS1_11reduce_implILb1ES3_PfS7_fN6thrust23THRUST_200600_302600_NS4plusIfEEEE10hipError_tPvRmT1_T2_T3_mT4_P12ihipStream_tbEUlT_E1_NS1_11comp_targetILNS1_3genE10ELNS1_11target_archE1201ELNS1_3gpuE5ELNS1_3repE0EEENS1_30default_config_static_selectorELNS0_4arch9wavefront6targetE0EEEvSF_
	.p2align	8
	.type	_ZN7rocprim17ROCPRIM_400000_NS6detail17trampoline_kernelINS0_14default_configENS1_22reduce_config_selectorIfEEZNS1_11reduce_implILb1ES3_PfS7_fN6thrust23THRUST_200600_302600_NS4plusIfEEEE10hipError_tPvRmT1_T2_T3_mT4_P12ihipStream_tbEUlT_E1_NS1_11comp_targetILNS1_3genE10ELNS1_11target_archE1201ELNS1_3gpuE5ELNS1_3repE0EEENS1_30default_config_static_selectorELNS0_4arch9wavefront6targetE0EEEvSF_,@function
_ZN7rocprim17ROCPRIM_400000_NS6detail17trampoline_kernelINS0_14default_configENS1_22reduce_config_selectorIfEEZNS1_11reduce_implILb1ES3_PfS7_fN6thrust23THRUST_200600_302600_NS4plusIfEEEE10hipError_tPvRmT1_T2_T3_mT4_P12ihipStream_tbEUlT_E1_NS1_11comp_targetILNS1_3genE10ELNS1_11target_archE1201ELNS1_3gpuE5ELNS1_3repE0EEENS1_30default_config_static_selectorELNS0_4arch9wavefront6targetE0EEEvSF_: ; @_ZN7rocprim17ROCPRIM_400000_NS6detail17trampoline_kernelINS0_14default_configENS1_22reduce_config_selectorIfEEZNS1_11reduce_implILb1ES3_PfS7_fN6thrust23THRUST_200600_302600_NS4plusIfEEEE10hipError_tPvRmT1_T2_T3_mT4_P12ihipStream_tbEUlT_E1_NS1_11comp_targetILNS1_3genE10ELNS1_11target_archE1201ELNS1_3gpuE5ELNS1_3repE0EEENS1_30default_config_static_selectorELNS0_4arch9wavefront6targetE0EEEvSF_
; %bb.0:
	.section	.rodata,"a",@progbits
	.p2align	6, 0x0
	.amdhsa_kernel _ZN7rocprim17ROCPRIM_400000_NS6detail17trampoline_kernelINS0_14default_configENS1_22reduce_config_selectorIfEEZNS1_11reduce_implILb1ES3_PfS7_fN6thrust23THRUST_200600_302600_NS4plusIfEEEE10hipError_tPvRmT1_T2_T3_mT4_P12ihipStream_tbEUlT_E1_NS1_11comp_targetILNS1_3genE10ELNS1_11target_archE1201ELNS1_3gpuE5ELNS1_3repE0EEENS1_30default_config_static_selectorELNS0_4arch9wavefront6targetE0EEEvSF_
		.amdhsa_group_segment_fixed_size 0
		.amdhsa_private_segment_fixed_size 0
		.amdhsa_kernarg_size 40
		.amdhsa_user_sgpr_count 6
		.amdhsa_user_sgpr_private_segment_buffer 1
		.amdhsa_user_sgpr_dispatch_ptr 0
		.amdhsa_user_sgpr_queue_ptr 0
		.amdhsa_user_sgpr_kernarg_segment_ptr 1
		.amdhsa_user_sgpr_dispatch_id 0
		.amdhsa_user_sgpr_flat_scratch_init 0
		.amdhsa_user_sgpr_private_segment_size 0
		.amdhsa_wavefront_size32 1
		.amdhsa_uses_dynamic_stack 0
		.amdhsa_system_sgpr_private_segment_wavefront_offset 0
		.amdhsa_system_sgpr_workgroup_id_x 1
		.amdhsa_system_sgpr_workgroup_id_y 0
		.amdhsa_system_sgpr_workgroup_id_z 0
		.amdhsa_system_sgpr_workgroup_info 0
		.amdhsa_system_vgpr_workitem_id 0
		.amdhsa_next_free_vgpr 1
		.amdhsa_next_free_sgpr 1
		.amdhsa_reserve_vcc 0
		.amdhsa_reserve_flat_scratch 0
		.amdhsa_float_round_mode_32 0
		.amdhsa_float_round_mode_16_64 0
		.amdhsa_float_denorm_mode_32 3
		.amdhsa_float_denorm_mode_16_64 3
		.amdhsa_dx10_clamp 1
		.amdhsa_ieee_mode 1
		.amdhsa_fp16_overflow 0
		.amdhsa_workgroup_processor_mode 1
		.amdhsa_memory_ordered 1
		.amdhsa_forward_progress 1
		.amdhsa_shared_vgpr_count 0
		.amdhsa_exception_fp_ieee_invalid_op 0
		.amdhsa_exception_fp_denorm_src 0
		.amdhsa_exception_fp_ieee_div_zero 0
		.amdhsa_exception_fp_ieee_overflow 0
		.amdhsa_exception_fp_ieee_underflow 0
		.amdhsa_exception_fp_ieee_inexact 0
		.amdhsa_exception_int_div_zero 0
	.end_amdhsa_kernel
	.section	.text._ZN7rocprim17ROCPRIM_400000_NS6detail17trampoline_kernelINS0_14default_configENS1_22reduce_config_selectorIfEEZNS1_11reduce_implILb1ES3_PfS7_fN6thrust23THRUST_200600_302600_NS4plusIfEEEE10hipError_tPvRmT1_T2_T3_mT4_P12ihipStream_tbEUlT_E1_NS1_11comp_targetILNS1_3genE10ELNS1_11target_archE1201ELNS1_3gpuE5ELNS1_3repE0EEENS1_30default_config_static_selectorELNS0_4arch9wavefront6targetE0EEEvSF_,"axG",@progbits,_ZN7rocprim17ROCPRIM_400000_NS6detail17trampoline_kernelINS0_14default_configENS1_22reduce_config_selectorIfEEZNS1_11reduce_implILb1ES3_PfS7_fN6thrust23THRUST_200600_302600_NS4plusIfEEEE10hipError_tPvRmT1_T2_T3_mT4_P12ihipStream_tbEUlT_E1_NS1_11comp_targetILNS1_3genE10ELNS1_11target_archE1201ELNS1_3gpuE5ELNS1_3repE0EEENS1_30default_config_static_selectorELNS0_4arch9wavefront6targetE0EEEvSF_,comdat
.Lfunc_end14:
	.size	_ZN7rocprim17ROCPRIM_400000_NS6detail17trampoline_kernelINS0_14default_configENS1_22reduce_config_selectorIfEEZNS1_11reduce_implILb1ES3_PfS7_fN6thrust23THRUST_200600_302600_NS4plusIfEEEE10hipError_tPvRmT1_T2_T3_mT4_P12ihipStream_tbEUlT_E1_NS1_11comp_targetILNS1_3genE10ELNS1_11target_archE1201ELNS1_3gpuE5ELNS1_3repE0EEENS1_30default_config_static_selectorELNS0_4arch9wavefront6targetE0EEEvSF_, .Lfunc_end14-_ZN7rocprim17ROCPRIM_400000_NS6detail17trampoline_kernelINS0_14default_configENS1_22reduce_config_selectorIfEEZNS1_11reduce_implILb1ES3_PfS7_fN6thrust23THRUST_200600_302600_NS4plusIfEEEE10hipError_tPvRmT1_T2_T3_mT4_P12ihipStream_tbEUlT_E1_NS1_11comp_targetILNS1_3genE10ELNS1_11target_archE1201ELNS1_3gpuE5ELNS1_3repE0EEENS1_30default_config_static_selectorELNS0_4arch9wavefront6targetE0EEEvSF_
                                        ; -- End function
	.set _ZN7rocprim17ROCPRIM_400000_NS6detail17trampoline_kernelINS0_14default_configENS1_22reduce_config_selectorIfEEZNS1_11reduce_implILb1ES3_PfS7_fN6thrust23THRUST_200600_302600_NS4plusIfEEEE10hipError_tPvRmT1_T2_T3_mT4_P12ihipStream_tbEUlT_E1_NS1_11comp_targetILNS1_3genE10ELNS1_11target_archE1201ELNS1_3gpuE5ELNS1_3repE0EEENS1_30default_config_static_selectorELNS0_4arch9wavefront6targetE0EEEvSF_.num_vgpr, 0
	.set _ZN7rocprim17ROCPRIM_400000_NS6detail17trampoline_kernelINS0_14default_configENS1_22reduce_config_selectorIfEEZNS1_11reduce_implILb1ES3_PfS7_fN6thrust23THRUST_200600_302600_NS4plusIfEEEE10hipError_tPvRmT1_T2_T3_mT4_P12ihipStream_tbEUlT_E1_NS1_11comp_targetILNS1_3genE10ELNS1_11target_archE1201ELNS1_3gpuE5ELNS1_3repE0EEENS1_30default_config_static_selectorELNS0_4arch9wavefront6targetE0EEEvSF_.num_agpr, 0
	.set _ZN7rocprim17ROCPRIM_400000_NS6detail17trampoline_kernelINS0_14default_configENS1_22reduce_config_selectorIfEEZNS1_11reduce_implILb1ES3_PfS7_fN6thrust23THRUST_200600_302600_NS4plusIfEEEE10hipError_tPvRmT1_T2_T3_mT4_P12ihipStream_tbEUlT_E1_NS1_11comp_targetILNS1_3genE10ELNS1_11target_archE1201ELNS1_3gpuE5ELNS1_3repE0EEENS1_30default_config_static_selectorELNS0_4arch9wavefront6targetE0EEEvSF_.numbered_sgpr, 0
	.set _ZN7rocprim17ROCPRIM_400000_NS6detail17trampoline_kernelINS0_14default_configENS1_22reduce_config_selectorIfEEZNS1_11reduce_implILb1ES3_PfS7_fN6thrust23THRUST_200600_302600_NS4plusIfEEEE10hipError_tPvRmT1_T2_T3_mT4_P12ihipStream_tbEUlT_E1_NS1_11comp_targetILNS1_3genE10ELNS1_11target_archE1201ELNS1_3gpuE5ELNS1_3repE0EEENS1_30default_config_static_selectorELNS0_4arch9wavefront6targetE0EEEvSF_.num_named_barrier, 0
	.set _ZN7rocprim17ROCPRIM_400000_NS6detail17trampoline_kernelINS0_14default_configENS1_22reduce_config_selectorIfEEZNS1_11reduce_implILb1ES3_PfS7_fN6thrust23THRUST_200600_302600_NS4plusIfEEEE10hipError_tPvRmT1_T2_T3_mT4_P12ihipStream_tbEUlT_E1_NS1_11comp_targetILNS1_3genE10ELNS1_11target_archE1201ELNS1_3gpuE5ELNS1_3repE0EEENS1_30default_config_static_selectorELNS0_4arch9wavefront6targetE0EEEvSF_.private_seg_size, 0
	.set _ZN7rocprim17ROCPRIM_400000_NS6detail17trampoline_kernelINS0_14default_configENS1_22reduce_config_selectorIfEEZNS1_11reduce_implILb1ES3_PfS7_fN6thrust23THRUST_200600_302600_NS4plusIfEEEE10hipError_tPvRmT1_T2_T3_mT4_P12ihipStream_tbEUlT_E1_NS1_11comp_targetILNS1_3genE10ELNS1_11target_archE1201ELNS1_3gpuE5ELNS1_3repE0EEENS1_30default_config_static_selectorELNS0_4arch9wavefront6targetE0EEEvSF_.uses_vcc, 0
	.set _ZN7rocprim17ROCPRIM_400000_NS6detail17trampoline_kernelINS0_14default_configENS1_22reduce_config_selectorIfEEZNS1_11reduce_implILb1ES3_PfS7_fN6thrust23THRUST_200600_302600_NS4plusIfEEEE10hipError_tPvRmT1_T2_T3_mT4_P12ihipStream_tbEUlT_E1_NS1_11comp_targetILNS1_3genE10ELNS1_11target_archE1201ELNS1_3gpuE5ELNS1_3repE0EEENS1_30default_config_static_selectorELNS0_4arch9wavefront6targetE0EEEvSF_.uses_flat_scratch, 0
	.set _ZN7rocprim17ROCPRIM_400000_NS6detail17trampoline_kernelINS0_14default_configENS1_22reduce_config_selectorIfEEZNS1_11reduce_implILb1ES3_PfS7_fN6thrust23THRUST_200600_302600_NS4plusIfEEEE10hipError_tPvRmT1_T2_T3_mT4_P12ihipStream_tbEUlT_E1_NS1_11comp_targetILNS1_3genE10ELNS1_11target_archE1201ELNS1_3gpuE5ELNS1_3repE0EEENS1_30default_config_static_selectorELNS0_4arch9wavefront6targetE0EEEvSF_.has_dyn_sized_stack, 0
	.set _ZN7rocprim17ROCPRIM_400000_NS6detail17trampoline_kernelINS0_14default_configENS1_22reduce_config_selectorIfEEZNS1_11reduce_implILb1ES3_PfS7_fN6thrust23THRUST_200600_302600_NS4plusIfEEEE10hipError_tPvRmT1_T2_T3_mT4_P12ihipStream_tbEUlT_E1_NS1_11comp_targetILNS1_3genE10ELNS1_11target_archE1201ELNS1_3gpuE5ELNS1_3repE0EEENS1_30default_config_static_selectorELNS0_4arch9wavefront6targetE0EEEvSF_.has_recursion, 0
	.set _ZN7rocprim17ROCPRIM_400000_NS6detail17trampoline_kernelINS0_14default_configENS1_22reduce_config_selectorIfEEZNS1_11reduce_implILb1ES3_PfS7_fN6thrust23THRUST_200600_302600_NS4plusIfEEEE10hipError_tPvRmT1_T2_T3_mT4_P12ihipStream_tbEUlT_E1_NS1_11comp_targetILNS1_3genE10ELNS1_11target_archE1201ELNS1_3gpuE5ELNS1_3repE0EEENS1_30default_config_static_selectorELNS0_4arch9wavefront6targetE0EEEvSF_.has_indirect_call, 0
	.section	.AMDGPU.csdata,"",@progbits
; Kernel info:
; codeLenInByte = 0
; TotalNumSgprs: 0
; NumVgprs: 0
; ScratchSize: 0
; MemoryBound: 0
; FloatMode: 240
; IeeeMode: 1
; LDSByteSize: 0 bytes/workgroup (compile time only)
; SGPRBlocks: 0
; VGPRBlocks: 0
; NumSGPRsForWavesPerEU: 1
; NumVGPRsForWavesPerEU: 1
; Occupancy: 16
; WaveLimiterHint : 0
; COMPUTE_PGM_RSRC2:SCRATCH_EN: 0
; COMPUTE_PGM_RSRC2:USER_SGPR: 6
; COMPUTE_PGM_RSRC2:TRAP_HANDLER: 0
; COMPUTE_PGM_RSRC2:TGID_X_EN: 1
; COMPUTE_PGM_RSRC2:TGID_Y_EN: 0
; COMPUTE_PGM_RSRC2:TGID_Z_EN: 0
; COMPUTE_PGM_RSRC2:TIDIG_COMP_CNT: 0
	.section	.text._ZN7rocprim17ROCPRIM_400000_NS6detail17trampoline_kernelINS0_14default_configENS1_22reduce_config_selectorIfEEZNS1_11reduce_implILb1ES3_PfS7_fN6thrust23THRUST_200600_302600_NS4plusIfEEEE10hipError_tPvRmT1_T2_T3_mT4_P12ihipStream_tbEUlT_E1_NS1_11comp_targetILNS1_3genE10ELNS1_11target_archE1200ELNS1_3gpuE4ELNS1_3repE0EEENS1_30default_config_static_selectorELNS0_4arch9wavefront6targetE0EEEvSF_,"axG",@progbits,_ZN7rocprim17ROCPRIM_400000_NS6detail17trampoline_kernelINS0_14default_configENS1_22reduce_config_selectorIfEEZNS1_11reduce_implILb1ES3_PfS7_fN6thrust23THRUST_200600_302600_NS4plusIfEEEE10hipError_tPvRmT1_T2_T3_mT4_P12ihipStream_tbEUlT_E1_NS1_11comp_targetILNS1_3genE10ELNS1_11target_archE1200ELNS1_3gpuE4ELNS1_3repE0EEENS1_30default_config_static_selectorELNS0_4arch9wavefront6targetE0EEEvSF_,comdat
	.protected	_ZN7rocprim17ROCPRIM_400000_NS6detail17trampoline_kernelINS0_14default_configENS1_22reduce_config_selectorIfEEZNS1_11reduce_implILb1ES3_PfS7_fN6thrust23THRUST_200600_302600_NS4plusIfEEEE10hipError_tPvRmT1_T2_T3_mT4_P12ihipStream_tbEUlT_E1_NS1_11comp_targetILNS1_3genE10ELNS1_11target_archE1200ELNS1_3gpuE4ELNS1_3repE0EEENS1_30default_config_static_selectorELNS0_4arch9wavefront6targetE0EEEvSF_ ; -- Begin function _ZN7rocprim17ROCPRIM_400000_NS6detail17trampoline_kernelINS0_14default_configENS1_22reduce_config_selectorIfEEZNS1_11reduce_implILb1ES3_PfS7_fN6thrust23THRUST_200600_302600_NS4plusIfEEEE10hipError_tPvRmT1_T2_T3_mT4_P12ihipStream_tbEUlT_E1_NS1_11comp_targetILNS1_3genE10ELNS1_11target_archE1200ELNS1_3gpuE4ELNS1_3repE0EEENS1_30default_config_static_selectorELNS0_4arch9wavefront6targetE0EEEvSF_
	.globl	_ZN7rocprim17ROCPRIM_400000_NS6detail17trampoline_kernelINS0_14default_configENS1_22reduce_config_selectorIfEEZNS1_11reduce_implILb1ES3_PfS7_fN6thrust23THRUST_200600_302600_NS4plusIfEEEE10hipError_tPvRmT1_T2_T3_mT4_P12ihipStream_tbEUlT_E1_NS1_11comp_targetILNS1_3genE10ELNS1_11target_archE1200ELNS1_3gpuE4ELNS1_3repE0EEENS1_30default_config_static_selectorELNS0_4arch9wavefront6targetE0EEEvSF_
	.p2align	8
	.type	_ZN7rocprim17ROCPRIM_400000_NS6detail17trampoline_kernelINS0_14default_configENS1_22reduce_config_selectorIfEEZNS1_11reduce_implILb1ES3_PfS7_fN6thrust23THRUST_200600_302600_NS4plusIfEEEE10hipError_tPvRmT1_T2_T3_mT4_P12ihipStream_tbEUlT_E1_NS1_11comp_targetILNS1_3genE10ELNS1_11target_archE1200ELNS1_3gpuE4ELNS1_3repE0EEENS1_30default_config_static_selectorELNS0_4arch9wavefront6targetE0EEEvSF_,@function
_ZN7rocprim17ROCPRIM_400000_NS6detail17trampoline_kernelINS0_14default_configENS1_22reduce_config_selectorIfEEZNS1_11reduce_implILb1ES3_PfS7_fN6thrust23THRUST_200600_302600_NS4plusIfEEEE10hipError_tPvRmT1_T2_T3_mT4_P12ihipStream_tbEUlT_E1_NS1_11comp_targetILNS1_3genE10ELNS1_11target_archE1200ELNS1_3gpuE4ELNS1_3repE0EEENS1_30default_config_static_selectorELNS0_4arch9wavefront6targetE0EEEvSF_: ; @_ZN7rocprim17ROCPRIM_400000_NS6detail17trampoline_kernelINS0_14default_configENS1_22reduce_config_selectorIfEEZNS1_11reduce_implILb1ES3_PfS7_fN6thrust23THRUST_200600_302600_NS4plusIfEEEE10hipError_tPvRmT1_T2_T3_mT4_P12ihipStream_tbEUlT_E1_NS1_11comp_targetILNS1_3genE10ELNS1_11target_archE1200ELNS1_3gpuE4ELNS1_3repE0EEENS1_30default_config_static_selectorELNS0_4arch9wavefront6targetE0EEEvSF_
; %bb.0:
	.section	.rodata,"a",@progbits
	.p2align	6, 0x0
	.amdhsa_kernel _ZN7rocprim17ROCPRIM_400000_NS6detail17trampoline_kernelINS0_14default_configENS1_22reduce_config_selectorIfEEZNS1_11reduce_implILb1ES3_PfS7_fN6thrust23THRUST_200600_302600_NS4plusIfEEEE10hipError_tPvRmT1_T2_T3_mT4_P12ihipStream_tbEUlT_E1_NS1_11comp_targetILNS1_3genE10ELNS1_11target_archE1200ELNS1_3gpuE4ELNS1_3repE0EEENS1_30default_config_static_selectorELNS0_4arch9wavefront6targetE0EEEvSF_
		.amdhsa_group_segment_fixed_size 0
		.amdhsa_private_segment_fixed_size 0
		.amdhsa_kernarg_size 40
		.amdhsa_user_sgpr_count 6
		.amdhsa_user_sgpr_private_segment_buffer 1
		.amdhsa_user_sgpr_dispatch_ptr 0
		.amdhsa_user_sgpr_queue_ptr 0
		.amdhsa_user_sgpr_kernarg_segment_ptr 1
		.amdhsa_user_sgpr_dispatch_id 0
		.amdhsa_user_sgpr_flat_scratch_init 0
		.amdhsa_user_sgpr_private_segment_size 0
		.amdhsa_wavefront_size32 1
		.amdhsa_uses_dynamic_stack 0
		.amdhsa_system_sgpr_private_segment_wavefront_offset 0
		.amdhsa_system_sgpr_workgroup_id_x 1
		.amdhsa_system_sgpr_workgroup_id_y 0
		.amdhsa_system_sgpr_workgroup_id_z 0
		.amdhsa_system_sgpr_workgroup_info 0
		.amdhsa_system_vgpr_workitem_id 0
		.amdhsa_next_free_vgpr 1
		.amdhsa_next_free_sgpr 1
		.amdhsa_reserve_vcc 0
		.amdhsa_reserve_flat_scratch 0
		.amdhsa_float_round_mode_32 0
		.amdhsa_float_round_mode_16_64 0
		.amdhsa_float_denorm_mode_32 3
		.amdhsa_float_denorm_mode_16_64 3
		.amdhsa_dx10_clamp 1
		.amdhsa_ieee_mode 1
		.amdhsa_fp16_overflow 0
		.amdhsa_workgroup_processor_mode 1
		.amdhsa_memory_ordered 1
		.amdhsa_forward_progress 1
		.amdhsa_shared_vgpr_count 0
		.amdhsa_exception_fp_ieee_invalid_op 0
		.amdhsa_exception_fp_denorm_src 0
		.amdhsa_exception_fp_ieee_div_zero 0
		.amdhsa_exception_fp_ieee_overflow 0
		.amdhsa_exception_fp_ieee_underflow 0
		.amdhsa_exception_fp_ieee_inexact 0
		.amdhsa_exception_int_div_zero 0
	.end_amdhsa_kernel
	.section	.text._ZN7rocprim17ROCPRIM_400000_NS6detail17trampoline_kernelINS0_14default_configENS1_22reduce_config_selectorIfEEZNS1_11reduce_implILb1ES3_PfS7_fN6thrust23THRUST_200600_302600_NS4plusIfEEEE10hipError_tPvRmT1_T2_T3_mT4_P12ihipStream_tbEUlT_E1_NS1_11comp_targetILNS1_3genE10ELNS1_11target_archE1200ELNS1_3gpuE4ELNS1_3repE0EEENS1_30default_config_static_selectorELNS0_4arch9wavefront6targetE0EEEvSF_,"axG",@progbits,_ZN7rocprim17ROCPRIM_400000_NS6detail17trampoline_kernelINS0_14default_configENS1_22reduce_config_selectorIfEEZNS1_11reduce_implILb1ES3_PfS7_fN6thrust23THRUST_200600_302600_NS4plusIfEEEE10hipError_tPvRmT1_T2_T3_mT4_P12ihipStream_tbEUlT_E1_NS1_11comp_targetILNS1_3genE10ELNS1_11target_archE1200ELNS1_3gpuE4ELNS1_3repE0EEENS1_30default_config_static_selectorELNS0_4arch9wavefront6targetE0EEEvSF_,comdat
.Lfunc_end15:
	.size	_ZN7rocprim17ROCPRIM_400000_NS6detail17trampoline_kernelINS0_14default_configENS1_22reduce_config_selectorIfEEZNS1_11reduce_implILb1ES3_PfS7_fN6thrust23THRUST_200600_302600_NS4plusIfEEEE10hipError_tPvRmT1_T2_T3_mT4_P12ihipStream_tbEUlT_E1_NS1_11comp_targetILNS1_3genE10ELNS1_11target_archE1200ELNS1_3gpuE4ELNS1_3repE0EEENS1_30default_config_static_selectorELNS0_4arch9wavefront6targetE0EEEvSF_, .Lfunc_end15-_ZN7rocprim17ROCPRIM_400000_NS6detail17trampoline_kernelINS0_14default_configENS1_22reduce_config_selectorIfEEZNS1_11reduce_implILb1ES3_PfS7_fN6thrust23THRUST_200600_302600_NS4plusIfEEEE10hipError_tPvRmT1_T2_T3_mT4_P12ihipStream_tbEUlT_E1_NS1_11comp_targetILNS1_3genE10ELNS1_11target_archE1200ELNS1_3gpuE4ELNS1_3repE0EEENS1_30default_config_static_selectorELNS0_4arch9wavefront6targetE0EEEvSF_
                                        ; -- End function
	.set _ZN7rocprim17ROCPRIM_400000_NS6detail17trampoline_kernelINS0_14default_configENS1_22reduce_config_selectorIfEEZNS1_11reduce_implILb1ES3_PfS7_fN6thrust23THRUST_200600_302600_NS4plusIfEEEE10hipError_tPvRmT1_T2_T3_mT4_P12ihipStream_tbEUlT_E1_NS1_11comp_targetILNS1_3genE10ELNS1_11target_archE1200ELNS1_3gpuE4ELNS1_3repE0EEENS1_30default_config_static_selectorELNS0_4arch9wavefront6targetE0EEEvSF_.num_vgpr, 0
	.set _ZN7rocprim17ROCPRIM_400000_NS6detail17trampoline_kernelINS0_14default_configENS1_22reduce_config_selectorIfEEZNS1_11reduce_implILb1ES3_PfS7_fN6thrust23THRUST_200600_302600_NS4plusIfEEEE10hipError_tPvRmT1_T2_T3_mT4_P12ihipStream_tbEUlT_E1_NS1_11comp_targetILNS1_3genE10ELNS1_11target_archE1200ELNS1_3gpuE4ELNS1_3repE0EEENS1_30default_config_static_selectorELNS0_4arch9wavefront6targetE0EEEvSF_.num_agpr, 0
	.set _ZN7rocprim17ROCPRIM_400000_NS6detail17trampoline_kernelINS0_14default_configENS1_22reduce_config_selectorIfEEZNS1_11reduce_implILb1ES3_PfS7_fN6thrust23THRUST_200600_302600_NS4plusIfEEEE10hipError_tPvRmT1_T2_T3_mT4_P12ihipStream_tbEUlT_E1_NS1_11comp_targetILNS1_3genE10ELNS1_11target_archE1200ELNS1_3gpuE4ELNS1_3repE0EEENS1_30default_config_static_selectorELNS0_4arch9wavefront6targetE0EEEvSF_.numbered_sgpr, 0
	.set _ZN7rocprim17ROCPRIM_400000_NS6detail17trampoline_kernelINS0_14default_configENS1_22reduce_config_selectorIfEEZNS1_11reduce_implILb1ES3_PfS7_fN6thrust23THRUST_200600_302600_NS4plusIfEEEE10hipError_tPvRmT1_T2_T3_mT4_P12ihipStream_tbEUlT_E1_NS1_11comp_targetILNS1_3genE10ELNS1_11target_archE1200ELNS1_3gpuE4ELNS1_3repE0EEENS1_30default_config_static_selectorELNS0_4arch9wavefront6targetE0EEEvSF_.num_named_barrier, 0
	.set _ZN7rocprim17ROCPRIM_400000_NS6detail17trampoline_kernelINS0_14default_configENS1_22reduce_config_selectorIfEEZNS1_11reduce_implILb1ES3_PfS7_fN6thrust23THRUST_200600_302600_NS4plusIfEEEE10hipError_tPvRmT1_T2_T3_mT4_P12ihipStream_tbEUlT_E1_NS1_11comp_targetILNS1_3genE10ELNS1_11target_archE1200ELNS1_3gpuE4ELNS1_3repE0EEENS1_30default_config_static_selectorELNS0_4arch9wavefront6targetE0EEEvSF_.private_seg_size, 0
	.set _ZN7rocprim17ROCPRIM_400000_NS6detail17trampoline_kernelINS0_14default_configENS1_22reduce_config_selectorIfEEZNS1_11reduce_implILb1ES3_PfS7_fN6thrust23THRUST_200600_302600_NS4plusIfEEEE10hipError_tPvRmT1_T2_T3_mT4_P12ihipStream_tbEUlT_E1_NS1_11comp_targetILNS1_3genE10ELNS1_11target_archE1200ELNS1_3gpuE4ELNS1_3repE0EEENS1_30default_config_static_selectorELNS0_4arch9wavefront6targetE0EEEvSF_.uses_vcc, 0
	.set _ZN7rocprim17ROCPRIM_400000_NS6detail17trampoline_kernelINS0_14default_configENS1_22reduce_config_selectorIfEEZNS1_11reduce_implILb1ES3_PfS7_fN6thrust23THRUST_200600_302600_NS4plusIfEEEE10hipError_tPvRmT1_T2_T3_mT4_P12ihipStream_tbEUlT_E1_NS1_11comp_targetILNS1_3genE10ELNS1_11target_archE1200ELNS1_3gpuE4ELNS1_3repE0EEENS1_30default_config_static_selectorELNS0_4arch9wavefront6targetE0EEEvSF_.uses_flat_scratch, 0
	.set _ZN7rocprim17ROCPRIM_400000_NS6detail17trampoline_kernelINS0_14default_configENS1_22reduce_config_selectorIfEEZNS1_11reduce_implILb1ES3_PfS7_fN6thrust23THRUST_200600_302600_NS4plusIfEEEE10hipError_tPvRmT1_T2_T3_mT4_P12ihipStream_tbEUlT_E1_NS1_11comp_targetILNS1_3genE10ELNS1_11target_archE1200ELNS1_3gpuE4ELNS1_3repE0EEENS1_30default_config_static_selectorELNS0_4arch9wavefront6targetE0EEEvSF_.has_dyn_sized_stack, 0
	.set _ZN7rocprim17ROCPRIM_400000_NS6detail17trampoline_kernelINS0_14default_configENS1_22reduce_config_selectorIfEEZNS1_11reduce_implILb1ES3_PfS7_fN6thrust23THRUST_200600_302600_NS4plusIfEEEE10hipError_tPvRmT1_T2_T3_mT4_P12ihipStream_tbEUlT_E1_NS1_11comp_targetILNS1_3genE10ELNS1_11target_archE1200ELNS1_3gpuE4ELNS1_3repE0EEENS1_30default_config_static_selectorELNS0_4arch9wavefront6targetE0EEEvSF_.has_recursion, 0
	.set _ZN7rocprim17ROCPRIM_400000_NS6detail17trampoline_kernelINS0_14default_configENS1_22reduce_config_selectorIfEEZNS1_11reduce_implILb1ES3_PfS7_fN6thrust23THRUST_200600_302600_NS4plusIfEEEE10hipError_tPvRmT1_T2_T3_mT4_P12ihipStream_tbEUlT_E1_NS1_11comp_targetILNS1_3genE10ELNS1_11target_archE1200ELNS1_3gpuE4ELNS1_3repE0EEENS1_30default_config_static_selectorELNS0_4arch9wavefront6targetE0EEEvSF_.has_indirect_call, 0
	.section	.AMDGPU.csdata,"",@progbits
; Kernel info:
; codeLenInByte = 0
; TotalNumSgprs: 0
; NumVgprs: 0
; ScratchSize: 0
; MemoryBound: 0
; FloatMode: 240
; IeeeMode: 1
; LDSByteSize: 0 bytes/workgroup (compile time only)
; SGPRBlocks: 0
; VGPRBlocks: 0
; NumSGPRsForWavesPerEU: 1
; NumVGPRsForWavesPerEU: 1
; Occupancy: 16
; WaveLimiterHint : 0
; COMPUTE_PGM_RSRC2:SCRATCH_EN: 0
; COMPUTE_PGM_RSRC2:USER_SGPR: 6
; COMPUTE_PGM_RSRC2:TRAP_HANDLER: 0
; COMPUTE_PGM_RSRC2:TGID_X_EN: 1
; COMPUTE_PGM_RSRC2:TGID_Y_EN: 0
; COMPUTE_PGM_RSRC2:TGID_Z_EN: 0
; COMPUTE_PGM_RSRC2:TIDIG_COMP_CNT: 0
	.section	.text._ZN7rocprim17ROCPRIM_400000_NS6detail17trampoline_kernelINS0_14default_configENS1_22reduce_config_selectorIfEEZNS1_11reduce_implILb1ES3_PfS7_fN6thrust23THRUST_200600_302600_NS4plusIfEEEE10hipError_tPvRmT1_T2_T3_mT4_P12ihipStream_tbEUlT_E1_NS1_11comp_targetILNS1_3genE9ELNS1_11target_archE1100ELNS1_3gpuE3ELNS1_3repE0EEENS1_30default_config_static_selectorELNS0_4arch9wavefront6targetE0EEEvSF_,"axG",@progbits,_ZN7rocprim17ROCPRIM_400000_NS6detail17trampoline_kernelINS0_14default_configENS1_22reduce_config_selectorIfEEZNS1_11reduce_implILb1ES3_PfS7_fN6thrust23THRUST_200600_302600_NS4plusIfEEEE10hipError_tPvRmT1_T2_T3_mT4_P12ihipStream_tbEUlT_E1_NS1_11comp_targetILNS1_3genE9ELNS1_11target_archE1100ELNS1_3gpuE3ELNS1_3repE0EEENS1_30default_config_static_selectorELNS0_4arch9wavefront6targetE0EEEvSF_,comdat
	.protected	_ZN7rocprim17ROCPRIM_400000_NS6detail17trampoline_kernelINS0_14default_configENS1_22reduce_config_selectorIfEEZNS1_11reduce_implILb1ES3_PfS7_fN6thrust23THRUST_200600_302600_NS4plusIfEEEE10hipError_tPvRmT1_T2_T3_mT4_P12ihipStream_tbEUlT_E1_NS1_11comp_targetILNS1_3genE9ELNS1_11target_archE1100ELNS1_3gpuE3ELNS1_3repE0EEENS1_30default_config_static_selectorELNS0_4arch9wavefront6targetE0EEEvSF_ ; -- Begin function _ZN7rocprim17ROCPRIM_400000_NS6detail17trampoline_kernelINS0_14default_configENS1_22reduce_config_selectorIfEEZNS1_11reduce_implILb1ES3_PfS7_fN6thrust23THRUST_200600_302600_NS4plusIfEEEE10hipError_tPvRmT1_T2_T3_mT4_P12ihipStream_tbEUlT_E1_NS1_11comp_targetILNS1_3genE9ELNS1_11target_archE1100ELNS1_3gpuE3ELNS1_3repE0EEENS1_30default_config_static_selectorELNS0_4arch9wavefront6targetE0EEEvSF_
	.globl	_ZN7rocprim17ROCPRIM_400000_NS6detail17trampoline_kernelINS0_14default_configENS1_22reduce_config_selectorIfEEZNS1_11reduce_implILb1ES3_PfS7_fN6thrust23THRUST_200600_302600_NS4plusIfEEEE10hipError_tPvRmT1_T2_T3_mT4_P12ihipStream_tbEUlT_E1_NS1_11comp_targetILNS1_3genE9ELNS1_11target_archE1100ELNS1_3gpuE3ELNS1_3repE0EEENS1_30default_config_static_selectorELNS0_4arch9wavefront6targetE0EEEvSF_
	.p2align	8
	.type	_ZN7rocprim17ROCPRIM_400000_NS6detail17trampoline_kernelINS0_14default_configENS1_22reduce_config_selectorIfEEZNS1_11reduce_implILb1ES3_PfS7_fN6thrust23THRUST_200600_302600_NS4plusIfEEEE10hipError_tPvRmT1_T2_T3_mT4_P12ihipStream_tbEUlT_E1_NS1_11comp_targetILNS1_3genE9ELNS1_11target_archE1100ELNS1_3gpuE3ELNS1_3repE0EEENS1_30default_config_static_selectorELNS0_4arch9wavefront6targetE0EEEvSF_,@function
_ZN7rocprim17ROCPRIM_400000_NS6detail17trampoline_kernelINS0_14default_configENS1_22reduce_config_selectorIfEEZNS1_11reduce_implILb1ES3_PfS7_fN6thrust23THRUST_200600_302600_NS4plusIfEEEE10hipError_tPvRmT1_T2_T3_mT4_P12ihipStream_tbEUlT_E1_NS1_11comp_targetILNS1_3genE9ELNS1_11target_archE1100ELNS1_3gpuE3ELNS1_3repE0EEENS1_30default_config_static_selectorELNS0_4arch9wavefront6targetE0EEEvSF_: ; @_ZN7rocprim17ROCPRIM_400000_NS6detail17trampoline_kernelINS0_14default_configENS1_22reduce_config_selectorIfEEZNS1_11reduce_implILb1ES3_PfS7_fN6thrust23THRUST_200600_302600_NS4plusIfEEEE10hipError_tPvRmT1_T2_T3_mT4_P12ihipStream_tbEUlT_E1_NS1_11comp_targetILNS1_3genE9ELNS1_11target_archE1100ELNS1_3gpuE3ELNS1_3repE0EEENS1_30default_config_static_selectorELNS0_4arch9wavefront6targetE0EEEvSF_
; %bb.0:
	.section	.rodata,"a",@progbits
	.p2align	6, 0x0
	.amdhsa_kernel _ZN7rocprim17ROCPRIM_400000_NS6detail17trampoline_kernelINS0_14default_configENS1_22reduce_config_selectorIfEEZNS1_11reduce_implILb1ES3_PfS7_fN6thrust23THRUST_200600_302600_NS4plusIfEEEE10hipError_tPvRmT1_T2_T3_mT4_P12ihipStream_tbEUlT_E1_NS1_11comp_targetILNS1_3genE9ELNS1_11target_archE1100ELNS1_3gpuE3ELNS1_3repE0EEENS1_30default_config_static_selectorELNS0_4arch9wavefront6targetE0EEEvSF_
		.amdhsa_group_segment_fixed_size 0
		.amdhsa_private_segment_fixed_size 0
		.amdhsa_kernarg_size 40
		.amdhsa_user_sgpr_count 6
		.amdhsa_user_sgpr_private_segment_buffer 1
		.amdhsa_user_sgpr_dispatch_ptr 0
		.amdhsa_user_sgpr_queue_ptr 0
		.amdhsa_user_sgpr_kernarg_segment_ptr 1
		.amdhsa_user_sgpr_dispatch_id 0
		.amdhsa_user_sgpr_flat_scratch_init 0
		.amdhsa_user_sgpr_private_segment_size 0
		.amdhsa_wavefront_size32 1
		.amdhsa_uses_dynamic_stack 0
		.amdhsa_system_sgpr_private_segment_wavefront_offset 0
		.amdhsa_system_sgpr_workgroup_id_x 1
		.amdhsa_system_sgpr_workgroup_id_y 0
		.amdhsa_system_sgpr_workgroup_id_z 0
		.amdhsa_system_sgpr_workgroup_info 0
		.amdhsa_system_vgpr_workitem_id 0
		.amdhsa_next_free_vgpr 1
		.amdhsa_next_free_sgpr 1
		.amdhsa_reserve_vcc 0
		.amdhsa_reserve_flat_scratch 0
		.amdhsa_float_round_mode_32 0
		.amdhsa_float_round_mode_16_64 0
		.amdhsa_float_denorm_mode_32 3
		.amdhsa_float_denorm_mode_16_64 3
		.amdhsa_dx10_clamp 1
		.amdhsa_ieee_mode 1
		.amdhsa_fp16_overflow 0
		.amdhsa_workgroup_processor_mode 1
		.amdhsa_memory_ordered 1
		.amdhsa_forward_progress 1
		.amdhsa_shared_vgpr_count 0
		.amdhsa_exception_fp_ieee_invalid_op 0
		.amdhsa_exception_fp_denorm_src 0
		.amdhsa_exception_fp_ieee_div_zero 0
		.amdhsa_exception_fp_ieee_overflow 0
		.amdhsa_exception_fp_ieee_underflow 0
		.amdhsa_exception_fp_ieee_inexact 0
		.amdhsa_exception_int_div_zero 0
	.end_amdhsa_kernel
	.section	.text._ZN7rocprim17ROCPRIM_400000_NS6detail17trampoline_kernelINS0_14default_configENS1_22reduce_config_selectorIfEEZNS1_11reduce_implILb1ES3_PfS7_fN6thrust23THRUST_200600_302600_NS4plusIfEEEE10hipError_tPvRmT1_T2_T3_mT4_P12ihipStream_tbEUlT_E1_NS1_11comp_targetILNS1_3genE9ELNS1_11target_archE1100ELNS1_3gpuE3ELNS1_3repE0EEENS1_30default_config_static_selectorELNS0_4arch9wavefront6targetE0EEEvSF_,"axG",@progbits,_ZN7rocprim17ROCPRIM_400000_NS6detail17trampoline_kernelINS0_14default_configENS1_22reduce_config_selectorIfEEZNS1_11reduce_implILb1ES3_PfS7_fN6thrust23THRUST_200600_302600_NS4plusIfEEEE10hipError_tPvRmT1_T2_T3_mT4_P12ihipStream_tbEUlT_E1_NS1_11comp_targetILNS1_3genE9ELNS1_11target_archE1100ELNS1_3gpuE3ELNS1_3repE0EEENS1_30default_config_static_selectorELNS0_4arch9wavefront6targetE0EEEvSF_,comdat
.Lfunc_end16:
	.size	_ZN7rocprim17ROCPRIM_400000_NS6detail17trampoline_kernelINS0_14default_configENS1_22reduce_config_selectorIfEEZNS1_11reduce_implILb1ES3_PfS7_fN6thrust23THRUST_200600_302600_NS4plusIfEEEE10hipError_tPvRmT1_T2_T3_mT4_P12ihipStream_tbEUlT_E1_NS1_11comp_targetILNS1_3genE9ELNS1_11target_archE1100ELNS1_3gpuE3ELNS1_3repE0EEENS1_30default_config_static_selectorELNS0_4arch9wavefront6targetE0EEEvSF_, .Lfunc_end16-_ZN7rocprim17ROCPRIM_400000_NS6detail17trampoline_kernelINS0_14default_configENS1_22reduce_config_selectorIfEEZNS1_11reduce_implILb1ES3_PfS7_fN6thrust23THRUST_200600_302600_NS4plusIfEEEE10hipError_tPvRmT1_T2_T3_mT4_P12ihipStream_tbEUlT_E1_NS1_11comp_targetILNS1_3genE9ELNS1_11target_archE1100ELNS1_3gpuE3ELNS1_3repE0EEENS1_30default_config_static_selectorELNS0_4arch9wavefront6targetE0EEEvSF_
                                        ; -- End function
	.set _ZN7rocprim17ROCPRIM_400000_NS6detail17trampoline_kernelINS0_14default_configENS1_22reduce_config_selectorIfEEZNS1_11reduce_implILb1ES3_PfS7_fN6thrust23THRUST_200600_302600_NS4plusIfEEEE10hipError_tPvRmT1_T2_T3_mT4_P12ihipStream_tbEUlT_E1_NS1_11comp_targetILNS1_3genE9ELNS1_11target_archE1100ELNS1_3gpuE3ELNS1_3repE0EEENS1_30default_config_static_selectorELNS0_4arch9wavefront6targetE0EEEvSF_.num_vgpr, 0
	.set _ZN7rocprim17ROCPRIM_400000_NS6detail17trampoline_kernelINS0_14default_configENS1_22reduce_config_selectorIfEEZNS1_11reduce_implILb1ES3_PfS7_fN6thrust23THRUST_200600_302600_NS4plusIfEEEE10hipError_tPvRmT1_T2_T3_mT4_P12ihipStream_tbEUlT_E1_NS1_11comp_targetILNS1_3genE9ELNS1_11target_archE1100ELNS1_3gpuE3ELNS1_3repE0EEENS1_30default_config_static_selectorELNS0_4arch9wavefront6targetE0EEEvSF_.num_agpr, 0
	.set _ZN7rocprim17ROCPRIM_400000_NS6detail17trampoline_kernelINS0_14default_configENS1_22reduce_config_selectorIfEEZNS1_11reduce_implILb1ES3_PfS7_fN6thrust23THRUST_200600_302600_NS4plusIfEEEE10hipError_tPvRmT1_T2_T3_mT4_P12ihipStream_tbEUlT_E1_NS1_11comp_targetILNS1_3genE9ELNS1_11target_archE1100ELNS1_3gpuE3ELNS1_3repE0EEENS1_30default_config_static_selectorELNS0_4arch9wavefront6targetE0EEEvSF_.numbered_sgpr, 0
	.set _ZN7rocprim17ROCPRIM_400000_NS6detail17trampoline_kernelINS0_14default_configENS1_22reduce_config_selectorIfEEZNS1_11reduce_implILb1ES3_PfS7_fN6thrust23THRUST_200600_302600_NS4plusIfEEEE10hipError_tPvRmT1_T2_T3_mT4_P12ihipStream_tbEUlT_E1_NS1_11comp_targetILNS1_3genE9ELNS1_11target_archE1100ELNS1_3gpuE3ELNS1_3repE0EEENS1_30default_config_static_selectorELNS0_4arch9wavefront6targetE0EEEvSF_.num_named_barrier, 0
	.set _ZN7rocprim17ROCPRIM_400000_NS6detail17trampoline_kernelINS0_14default_configENS1_22reduce_config_selectorIfEEZNS1_11reduce_implILb1ES3_PfS7_fN6thrust23THRUST_200600_302600_NS4plusIfEEEE10hipError_tPvRmT1_T2_T3_mT4_P12ihipStream_tbEUlT_E1_NS1_11comp_targetILNS1_3genE9ELNS1_11target_archE1100ELNS1_3gpuE3ELNS1_3repE0EEENS1_30default_config_static_selectorELNS0_4arch9wavefront6targetE0EEEvSF_.private_seg_size, 0
	.set _ZN7rocprim17ROCPRIM_400000_NS6detail17trampoline_kernelINS0_14default_configENS1_22reduce_config_selectorIfEEZNS1_11reduce_implILb1ES3_PfS7_fN6thrust23THRUST_200600_302600_NS4plusIfEEEE10hipError_tPvRmT1_T2_T3_mT4_P12ihipStream_tbEUlT_E1_NS1_11comp_targetILNS1_3genE9ELNS1_11target_archE1100ELNS1_3gpuE3ELNS1_3repE0EEENS1_30default_config_static_selectorELNS0_4arch9wavefront6targetE0EEEvSF_.uses_vcc, 0
	.set _ZN7rocprim17ROCPRIM_400000_NS6detail17trampoline_kernelINS0_14default_configENS1_22reduce_config_selectorIfEEZNS1_11reduce_implILb1ES3_PfS7_fN6thrust23THRUST_200600_302600_NS4plusIfEEEE10hipError_tPvRmT1_T2_T3_mT4_P12ihipStream_tbEUlT_E1_NS1_11comp_targetILNS1_3genE9ELNS1_11target_archE1100ELNS1_3gpuE3ELNS1_3repE0EEENS1_30default_config_static_selectorELNS0_4arch9wavefront6targetE0EEEvSF_.uses_flat_scratch, 0
	.set _ZN7rocprim17ROCPRIM_400000_NS6detail17trampoline_kernelINS0_14default_configENS1_22reduce_config_selectorIfEEZNS1_11reduce_implILb1ES3_PfS7_fN6thrust23THRUST_200600_302600_NS4plusIfEEEE10hipError_tPvRmT1_T2_T3_mT4_P12ihipStream_tbEUlT_E1_NS1_11comp_targetILNS1_3genE9ELNS1_11target_archE1100ELNS1_3gpuE3ELNS1_3repE0EEENS1_30default_config_static_selectorELNS0_4arch9wavefront6targetE0EEEvSF_.has_dyn_sized_stack, 0
	.set _ZN7rocprim17ROCPRIM_400000_NS6detail17trampoline_kernelINS0_14default_configENS1_22reduce_config_selectorIfEEZNS1_11reduce_implILb1ES3_PfS7_fN6thrust23THRUST_200600_302600_NS4plusIfEEEE10hipError_tPvRmT1_T2_T3_mT4_P12ihipStream_tbEUlT_E1_NS1_11comp_targetILNS1_3genE9ELNS1_11target_archE1100ELNS1_3gpuE3ELNS1_3repE0EEENS1_30default_config_static_selectorELNS0_4arch9wavefront6targetE0EEEvSF_.has_recursion, 0
	.set _ZN7rocprim17ROCPRIM_400000_NS6detail17trampoline_kernelINS0_14default_configENS1_22reduce_config_selectorIfEEZNS1_11reduce_implILb1ES3_PfS7_fN6thrust23THRUST_200600_302600_NS4plusIfEEEE10hipError_tPvRmT1_T2_T3_mT4_P12ihipStream_tbEUlT_E1_NS1_11comp_targetILNS1_3genE9ELNS1_11target_archE1100ELNS1_3gpuE3ELNS1_3repE0EEENS1_30default_config_static_selectorELNS0_4arch9wavefront6targetE0EEEvSF_.has_indirect_call, 0
	.section	.AMDGPU.csdata,"",@progbits
; Kernel info:
; codeLenInByte = 0
; TotalNumSgprs: 0
; NumVgprs: 0
; ScratchSize: 0
; MemoryBound: 0
; FloatMode: 240
; IeeeMode: 1
; LDSByteSize: 0 bytes/workgroup (compile time only)
; SGPRBlocks: 0
; VGPRBlocks: 0
; NumSGPRsForWavesPerEU: 1
; NumVGPRsForWavesPerEU: 1
; Occupancy: 16
; WaveLimiterHint : 0
; COMPUTE_PGM_RSRC2:SCRATCH_EN: 0
; COMPUTE_PGM_RSRC2:USER_SGPR: 6
; COMPUTE_PGM_RSRC2:TRAP_HANDLER: 0
; COMPUTE_PGM_RSRC2:TGID_X_EN: 1
; COMPUTE_PGM_RSRC2:TGID_Y_EN: 0
; COMPUTE_PGM_RSRC2:TGID_Z_EN: 0
; COMPUTE_PGM_RSRC2:TIDIG_COMP_CNT: 0
	.section	.text._ZN7rocprim17ROCPRIM_400000_NS6detail17trampoline_kernelINS0_14default_configENS1_22reduce_config_selectorIfEEZNS1_11reduce_implILb1ES3_PfS7_fN6thrust23THRUST_200600_302600_NS4plusIfEEEE10hipError_tPvRmT1_T2_T3_mT4_P12ihipStream_tbEUlT_E1_NS1_11comp_targetILNS1_3genE8ELNS1_11target_archE1030ELNS1_3gpuE2ELNS1_3repE0EEENS1_30default_config_static_selectorELNS0_4arch9wavefront6targetE0EEEvSF_,"axG",@progbits,_ZN7rocprim17ROCPRIM_400000_NS6detail17trampoline_kernelINS0_14default_configENS1_22reduce_config_selectorIfEEZNS1_11reduce_implILb1ES3_PfS7_fN6thrust23THRUST_200600_302600_NS4plusIfEEEE10hipError_tPvRmT1_T2_T3_mT4_P12ihipStream_tbEUlT_E1_NS1_11comp_targetILNS1_3genE8ELNS1_11target_archE1030ELNS1_3gpuE2ELNS1_3repE0EEENS1_30default_config_static_selectorELNS0_4arch9wavefront6targetE0EEEvSF_,comdat
	.protected	_ZN7rocprim17ROCPRIM_400000_NS6detail17trampoline_kernelINS0_14default_configENS1_22reduce_config_selectorIfEEZNS1_11reduce_implILb1ES3_PfS7_fN6thrust23THRUST_200600_302600_NS4plusIfEEEE10hipError_tPvRmT1_T2_T3_mT4_P12ihipStream_tbEUlT_E1_NS1_11comp_targetILNS1_3genE8ELNS1_11target_archE1030ELNS1_3gpuE2ELNS1_3repE0EEENS1_30default_config_static_selectorELNS0_4arch9wavefront6targetE0EEEvSF_ ; -- Begin function _ZN7rocprim17ROCPRIM_400000_NS6detail17trampoline_kernelINS0_14default_configENS1_22reduce_config_selectorIfEEZNS1_11reduce_implILb1ES3_PfS7_fN6thrust23THRUST_200600_302600_NS4plusIfEEEE10hipError_tPvRmT1_T2_T3_mT4_P12ihipStream_tbEUlT_E1_NS1_11comp_targetILNS1_3genE8ELNS1_11target_archE1030ELNS1_3gpuE2ELNS1_3repE0EEENS1_30default_config_static_selectorELNS0_4arch9wavefront6targetE0EEEvSF_
	.globl	_ZN7rocprim17ROCPRIM_400000_NS6detail17trampoline_kernelINS0_14default_configENS1_22reduce_config_selectorIfEEZNS1_11reduce_implILb1ES3_PfS7_fN6thrust23THRUST_200600_302600_NS4plusIfEEEE10hipError_tPvRmT1_T2_T3_mT4_P12ihipStream_tbEUlT_E1_NS1_11comp_targetILNS1_3genE8ELNS1_11target_archE1030ELNS1_3gpuE2ELNS1_3repE0EEENS1_30default_config_static_selectorELNS0_4arch9wavefront6targetE0EEEvSF_
	.p2align	8
	.type	_ZN7rocprim17ROCPRIM_400000_NS6detail17trampoline_kernelINS0_14default_configENS1_22reduce_config_selectorIfEEZNS1_11reduce_implILb1ES3_PfS7_fN6thrust23THRUST_200600_302600_NS4plusIfEEEE10hipError_tPvRmT1_T2_T3_mT4_P12ihipStream_tbEUlT_E1_NS1_11comp_targetILNS1_3genE8ELNS1_11target_archE1030ELNS1_3gpuE2ELNS1_3repE0EEENS1_30default_config_static_selectorELNS0_4arch9wavefront6targetE0EEEvSF_,@function
_ZN7rocprim17ROCPRIM_400000_NS6detail17trampoline_kernelINS0_14default_configENS1_22reduce_config_selectorIfEEZNS1_11reduce_implILb1ES3_PfS7_fN6thrust23THRUST_200600_302600_NS4plusIfEEEE10hipError_tPvRmT1_T2_T3_mT4_P12ihipStream_tbEUlT_E1_NS1_11comp_targetILNS1_3genE8ELNS1_11target_archE1030ELNS1_3gpuE2ELNS1_3repE0EEENS1_30default_config_static_selectorELNS0_4arch9wavefront6targetE0EEEvSF_: ; @_ZN7rocprim17ROCPRIM_400000_NS6detail17trampoline_kernelINS0_14default_configENS1_22reduce_config_selectorIfEEZNS1_11reduce_implILb1ES3_PfS7_fN6thrust23THRUST_200600_302600_NS4plusIfEEEE10hipError_tPvRmT1_T2_T3_mT4_P12ihipStream_tbEUlT_E1_NS1_11comp_targetILNS1_3genE8ELNS1_11target_archE1030ELNS1_3gpuE2ELNS1_3repE0EEENS1_30default_config_static_selectorELNS0_4arch9wavefront6targetE0EEEvSF_
; %bb.0:
	s_clause 0x1
	s_load_dword s35, s[4:5], 0x4
	s_load_dwordx4 s[36:39], s[4:5], 0x8
	s_waitcnt lgkmcnt(0)
	s_cmp_lt_i32 s35, 8
	s_cbranch_scc1 .LBB17_11
; %bb.1:
	s_cmp_gt_i32 s35, 15
	s_cbranch_scc0 .LBB17_12
; %bb.2:
	s_cmp_gt_i32 s35, 31
	s_cbranch_scc0 .LBB17_13
; %bb.3:
	s_cmp_eq_u32 s35, 32
	s_mov_b32 s42, 0
	s_cbranch_scc0 .LBB17_14
; %bb.4:
	s_mov_b32 s7, 0
	s_lshl_b32 s0, s6, 13
	s_mov_b32 s1, s7
	s_lshr_b64 s[8:9], s[38:39], 13
	s_lshl_b64 s[2:3], s[0:1], 2
	s_add_u32 s40, s36, s2
	s_addc_u32 s41, s37, s3
	s_cmp_lg_u64 s[8:9], s[6:7]
	s_cbranch_scc0 .LBB17_23
; %bb.5:
	v_lshlrev_b32_e32 v1, 2, v0
	s_clause 0x1
	global_load_dword v9, v1, s[40:41]
	global_load_dword v10, v1, s[40:41] offset:1024
	v_add_co_u32 v7, s1, s40, v1
	v_add_co_ci_u32_e64 v8, null, s41, 0, s1
	s_mov_b32 s1, exec_lo
	v_add_co_u32 v1, vcc_lo, v7, 0x1000
	v_add_co_ci_u32_e64 v2, null, 0, v8, vcc_lo
	v_add_co_u32 v3, vcc_lo, 0x800, v7
	v_add_co_ci_u32_e64 v4, null, 0, v8, vcc_lo
	s_clause 0x1
	global_load_dword v11, v[1:2], off offset:-2048
	global_load_dword v12, v[3:4], off offset:1024
	v_add_co_u32 v3, vcc_lo, 0x1000, v7
	v_add_co_ci_u32_e64 v4, null, 0, v8, vcc_lo
	s_clause 0x1
	global_load_dword v13, v[1:2], off
	global_load_dword v14, v[3:4], off offset:1024
	v_add_co_u32 v1, vcc_lo, v7, 0x2000
	v_add_co_ci_u32_e64 v2, null, 0, v8, vcc_lo
	v_add_co_u32 v3, vcc_lo, 0x1800, v7
	v_add_co_ci_u32_e64 v4, null, 0, v8, vcc_lo
	global_load_dword v15, v[1:2], off offset:-2048
	v_add_co_u32 v5, vcc_lo, 0x2000, v7
	v_add_co_ci_u32_e64 v6, null, 0, v8, vcc_lo
	s_clause 0x2
	global_load_dword v16, v[3:4], off offset:1024
	global_load_dword v17, v[1:2], off
	global_load_dword v18, v[5:6], off offset:1024
	v_add_co_u32 v1, vcc_lo, v7, 0x3000
	v_add_co_ci_u32_e64 v2, null, 0, v8, vcc_lo
	v_add_co_u32 v3, vcc_lo, 0x2800, v7
	v_add_co_ci_u32_e64 v4, null, 0, v8, vcc_lo
	s_clause 0x1
	global_load_dword v19, v[1:2], off offset:-2048
	global_load_dword v20, v[3:4], off offset:1024
	v_add_co_u32 v3, vcc_lo, 0x3000, v7
	v_add_co_ci_u32_e64 v4, null, 0, v8, vcc_lo
	s_clause 0x1
	global_load_dword v21, v[1:2], off
	global_load_dword v22, v[3:4], off offset:1024
	v_add_co_u32 v1, vcc_lo, v7, 0x4000
	v_add_co_ci_u32_e64 v2, null, 0, v8, vcc_lo
	v_add_co_u32 v3, vcc_lo, 0x3800, v7
	v_add_co_ci_u32_e64 v4, null, 0, v8, vcc_lo
	global_load_dword v23, v[1:2], off offset:-2048
	v_add_co_u32 v5, vcc_lo, 0x4000, v7
	v_add_co_ci_u32_e64 v6, null, 0, v8, vcc_lo
	s_clause 0x2
	global_load_dword v24, v[3:4], off offset:1024
	global_load_dword v25, v[1:2], off
	global_load_dword v26, v[5:6], off offset:1024
	;; [unrolled: 23-line block ×3, first 2 shown]
	v_add_co_u32 v1, vcc_lo, v7, 0x7000
	v_add_co_ci_u32_e64 v2, null, 0, v8, vcc_lo
	v_add_co_u32 v3, vcc_lo, 0x6800, v7
	v_add_co_ci_u32_e64 v4, null, 0, v8, vcc_lo
	s_clause 0x1
	global_load_dword v6, v[1:2], off offset:-2048
	global_load_dword v34, v[3:4], off offset:1024
	v_add_co_u32 v3, vcc_lo, 0x7000, v7
	v_add_co_ci_u32_e64 v4, null, 0, v8, vcc_lo
	s_clause 0x1
	global_load_dword v35, v[1:2], off
	global_load_dword v3, v[3:4], off offset:1024
	v_add_co_u32 v1, vcc_lo, 0x7800, v7
	v_add_co_ci_u32_e64 v2, null, 0, v8, vcc_lo
	s_clause 0x1
	global_load_dword v4, v[1:2], off
	global_load_dword v1, v[1:2], off offset:1024
	s_waitcnt vmcnt(30)
	v_add_f32_e32 v2, v9, v10
	s_waitcnt vmcnt(29)
	v_add_f32_e32 v2, v2, v11
	;; [unrolled: 2-line block ×29, first 2 shown]
	v_mov_b32_e32 v3, 0
	s_waitcnt vmcnt(1)
	v_add_f32_e32 v2, v2, v4
	s_waitcnt vmcnt(0)
	v_add_f32_e32 v1, v2, v1
	v_mov_b32_dpp v2, v1 quad_perm:[1,0,3,2] row_mask:0xf bank_mask:0xf
	v_add_f32_e32 v1, v1, v2
	v_mov_b32_dpp v2, v1 quad_perm:[2,3,0,1] row_mask:0xf bank_mask:0xf
	v_add_f32_e32 v1, v1, v2
	v_mov_b32_dpp v2, v1 row_ror:4 row_mask:0xf bank_mask:0xf
	v_add_f32_e32 v1, v1, v2
	v_mov_b32_dpp v2, v1 row_ror:8 row_mask:0xf bank_mask:0xf
	v_add_f32_e32 v1, v1, v2
	ds_swizzle_b32 v2, v1 offset:swizzle(BROADCAST,32,15)
	s_waitcnt lgkmcnt(0)
	v_add_f32_e32 v1, v1, v2
	v_mbcnt_lo_u32_b32 v2, -1, 0
	ds_bpermute_b32 v1, v3, v1 offset:124
	v_cmpx_eq_u32_e32 0, v2
	s_cbranch_execz .LBB17_7
; %bb.6:
	v_lshrrev_b32_e32 v3, 3, v0
	v_and_b32_e32 v3, 28, v3
	s_waitcnt lgkmcnt(0)
	ds_write_b32 v3, v1 offset:96
.LBB17_7:
	s_or_b32 exec_lo, exec_lo, s1
	s_mov_b32 s1, exec_lo
	s_waitcnt lgkmcnt(0)
	s_barrier
	buffer_gl0_inv
	v_cmpx_gt_u32_e32 32, v0
	s_cbranch_execz .LBB17_9
; %bb.8:
	v_lshl_or_b32 v1, v2, 2, 0x60
	v_and_b32_e32 v3, 7, v2
	ds_read_b32 v1, v1
	v_cmp_ne_u32_e32 vcc_lo, 7, v3
	v_add_co_ci_u32_e64 v4, null, 0, v2, vcc_lo
	v_cmp_gt_u32_e32 vcc_lo, 6, v3
	v_lshlrev_b32_e32 v4, 2, v4
	v_cndmask_b32_e64 v3, 0, 2, vcc_lo
	v_add_lshl_u32 v3, v3, v2, 2
	v_lshlrev_b32_e32 v2, 2, v2
	s_waitcnt lgkmcnt(0)
	ds_bpermute_b32 v4, v4, v1
	v_or_b32_e32 v2, 16, v2
	s_waitcnt lgkmcnt(0)
	v_add_f32_e32 v1, v1, v4
	ds_bpermute_b32 v3, v3, v1
	s_waitcnt lgkmcnt(0)
	v_add_f32_e32 v1, v1, v3
	ds_bpermute_b32 v2, v2, v1
	s_waitcnt lgkmcnt(0)
	v_add_f32_e32 v1, v1, v2
.LBB17_9:
	s_or_b32 exec_lo, exec_lo, s1
.LBB17_10:
	v_cmp_eq_u32_e64 s0, 0, v0
	s_and_b32 vcc_lo, exec_lo, s42
	s_cbranch_vccnz .LBB17_15
	s_branch .LBB17_93
.LBB17_11:
	s_mov_b32 s0, 0
                                        ; implicit-def: $vgpr1
	s_cbranch_execnz .LBB17_166
	s_branch .LBB17_224
.LBB17_12:
	s_mov_b32 s0, 0
                                        ; implicit-def: $vgpr1
	s_cbranch_execnz .LBB17_134
	s_branch .LBB17_142
.LBB17_13:
	s_mov_b32 s42, -1
.LBB17_14:
	s_mov_b32 s0, 0
                                        ; implicit-def: $vgpr1
	s_and_b32 vcc_lo, exec_lo, s42
	s_cbranch_vccz .LBB17_93
.LBB17_15:
	s_cmp_eq_u32 s35, 16
	s_cbranch_scc0 .LBB17_22
; %bb.16:
	s_mov_b32 s7, 0
	s_lshl_b32 s0, s6, 12
	s_mov_b32 s1, s7
	s_lshr_b64 s[8:9], s[38:39], 12
	s_lshl_b64 s[2:3], s[0:1], 2
	s_add_u32 s18, s36, s2
	s_addc_u32 s19, s37, s3
	s_cmp_lg_u64 s[8:9], s[6:7]
	s_cbranch_scc0 .LBB17_94
; %bb.17:
	v_lshlrev_b32_e32 v1, 2, v0
	s_clause 0x1
	global_load_dword v9, v1, s[18:19]
	global_load_dword v10, v1, s[18:19] offset:1024
	v_add_co_u32 v7, s1, s18, v1
	v_add_co_ci_u32_e64 v8, null, s19, 0, s1
	s_mov_b32 s1, exec_lo
	v_add_co_u32 v1, vcc_lo, v7, 0x1000
	v_add_co_ci_u32_e64 v2, null, 0, v8, vcc_lo
	v_add_co_u32 v3, vcc_lo, 0x800, v7
	v_add_co_ci_u32_e64 v4, null, 0, v8, vcc_lo
	s_clause 0x1
	global_load_dword v11, v[1:2], off offset:-2048
	global_load_dword v12, v[3:4], off offset:1024
	v_add_co_u32 v3, vcc_lo, 0x1000, v7
	v_add_co_ci_u32_e64 v4, null, 0, v8, vcc_lo
	s_clause 0x1
	global_load_dword v13, v[1:2], off
	global_load_dword v14, v[3:4], off offset:1024
	v_add_co_u32 v1, vcc_lo, v7, 0x2000
	v_add_co_ci_u32_e64 v2, null, 0, v8, vcc_lo
	v_add_co_u32 v3, vcc_lo, 0x1800, v7
	v_add_co_ci_u32_e64 v4, null, 0, v8, vcc_lo
	global_load_dword v15, v[1:2], off offset:-2048
	v_add_co_u32 v5, vcc_lo, 0x2000, v7
	v_add_co_ci_u32_e64 v6, null, 0, v8, vcc_lo
	s_clause 0x2
	global_load_dword v16, v[3:4], off offset:1024
	global_load_dword v17, v[1:2], off
	global_load_dword v5, v[5:6], off offset:1024
	v_add_co_u32 v1, vcc_lo, v7, 0x3000
	v_add_co_ci_u32_e64 v2, null, 0, v8, vcc_lo
	v_add_co_u32 v3, vcc_lo, 0x2800, v7
	v_add_co_ci_u32_e64 v4, null, 0, v8, vcc_lo
	s_clause 0x1
	global_load_dword v6, v[1:2], off offset:-2048
	global_load_dword v18, v[3:4], off offset:1024
	v_add_co_u32 v3, vcc_lo, 0x3000, v7
	v_add_co_ci_u32_e64 v4, null, 0, v8, vcc_lo
	s_clause 0x1
	global_load_dword v19, v[1:2], off
	global_load_dword v3, v[3:4], off offset:1024
	v_add_co_u32 v1, vcc_lo, 0x3800, v7
	v_add_co_ci_u32_e64 v2, null, 0, v8, vcc_lo
	s_clause 0x1
	global_load_dword v4, v[1:2], off
	global_load_dword v1, v[1:2], off offset:1024
	s_waitcnt vmcnt(14)
	v_add_f32_e32 v2, v9, v10
	s_waitcnt vmcnt(13)
	v_add_f32_e32 v2, v2, v11
	;; [unrolled: 2-line block ×13, first 2 shown]
	v_mov_b32_e32 v3, 0
	s_waitcnt vmcnt(1)
	v_add_f32_e32 v2, v2, v4
	s_waitcnt vmcnt(0)
	v_add_f32_e32 v1, v2, v1
	v_mov_b32_dpp v2, v1 quad_perm:[1,0,3,2] row_mask:0xf bank_mask:0xf
	v_add_f32_e32 v1, v1, v2
	v_mov_b32_dpp v2, v1 quad_perm:[2,3,0,1] row_mask:0xf bank_mask:0xf
	v_add_f32_e32 v1, v1, v2
	v_mov_b32_dpp v2, v1 row_ror:4 row_mask:0xf bank_mask:0xf
	v_add_f32_e32 v1, v1, v2
	v_mov_b32_dpp v2, v1 row_ror:8 row_mask:0xf bank_mask:0xf
	v_add_f32_e32 v1, v1, v2
	ds_swizzle_b32 v2, v1 offset:swizzle(BROADCAST,32,15)
	s_waitcnt lgkmcnt(0)
	v_add_f32_e32 v1, v1, v2
	v_mbcnt_lo_u32_b32 v2, -1, 0
	ds_bpermute_b32 v1, v3, v1 offset:124
	v_cmpx_eq_u32_e32 0, v2
	s_cbranch_execz .LBB17_19
; %bb.18:
	v_lshrrev_b32_e32 v3, 3, v0
	v_and_b32_e32 v3, 28, v3
	s_waitcnt lgkmcnt(0)
	ds_write_b32 v3, v1
.LBB17_19:
	s_or_b32 exec_lo, exec_lo, s1
	s_mov_b32 s1, exec_lo
	s_waitcnt lgkmcnt(0)
	s_barrier
	buffer_gl0_inv
	v_cmpx_gt_u32_e32 32, v0
	s_cbranch_execz .LBB17_21
; %bb.20:
	v_and_b32_e32 v1, 7, v2
	v_lshlrev_b32_e32 v3, 2, v1
	v_cmp_ne_u32_e32 vcc_lo, 7, v1
	ds_read_b32 v3, v3
	v_add_co_ci_u32_e64 v4, null, 0, v2, vcc_lo
	v_cmp_gt_u32_e32 vcc_lo, 6, v1
	v_lshlrev_b32_e32 v4, 2, v4
	v_cndmask_b32_e64 v1, 0, 2, vcc_lo
	v_add_lshl_u32 v1, v1, v2, 2
	v_lshlrev_b32_e32 v2, 2, v2
	v_or_b32_e32 v2, 16, v2
	s_waitcnt lgkmcnt(0)
	ds_bpermute_b32 v4, v4, v3
	s_waitcnt lgkmcnt(0)
	v_add_f32_e32 v3, v3, v4
	ds_bpermute_b32 v1, v1, v3
	s_waitcnt lgkmcnt(0)
	v_add_f32_e32 v1, v3, v1
	;; [unrolled: 3-line block ×3, first 2 shown]
.LBB17_21:
	s_or_b32 exec_lo, exec_lo, s1
	s_mov_b32 s1, 0
	s_branch .LBB17_95
.LBB17_22:
                                        ; implicit-def: $vgpr1
	s_branch .LBB17_142
.LBB17_23:
                                        ; implicit-def: $vgpr1
	s_cbranch_execz .LBB17_10
; %bb.24:
	v_mov_b32_e32 v1, 0
	s_sub_i32 s43, s38, s0
	v_cmp_gt_u32_e32 vcc_lo, s43, v0
	v_mov_b32_e32 v2, v1
	v_mov_b32_e32 v3, v1
	;; [unrolled: 1-line block ×31, first 2 shown]
	s_and_saveexec_b32 s0, vcc_lo
	s_cbranch_execz .LBB17_26
; %bb.25:
	v_lshlrev_b32_e32 v2, 2, v0
	v_mov_b32_e32 v33, v1
	v_mov_b32_e32 v3, v1
	;; [unrolled: 1-line block ×4, first 2 shown]
	global_load_dword v2, v2, s[40:41]
	v_mov_b32_e32 v6, v1
	v_mov_b32_e32 v7, v1
	;; [unrolled: 1-line block ×27, first 2 shown]
	s_waitcnt vmcnt(0)
	v_mov_b32_e32 v1, v2
	v_mov_b32_e32 v2, v3
	;; [unrolled: 1-line block ×32, first 2 shown]
.LBB17_26:
	s_or_b32 exec_lo, exec_lo, s0
	v_or_b32_e32 v33, 0x100, v0
	v_cmp_gt_u32_e32 vcc_lo, s43, v33
	s_and_saveexec_b32 s0, vcc_lo
	s_cbranch_execz .LBB17_28
; %bb.27:
	v_lshlrev_b32_e32 v2, 2, v0
	global_load_dword v2, v2, s[40:41] offset:1024
.LBB17_28:
	s_or_b32 exec_lo, exec_lo, s0
	v_or_b32_e32 v33, 0x200, v0
	v_cmp_gt_u32_e64 s0, s43, v33
	s_and_saveexec_b32 s1, s0
	s_cbranch_execz .LBB17_30
; %bb.29:
	v_lshlrev_b32_e32 v3, 2, v33
	global_load_dword v3, v3, s[40:41]
.LBB17_30:
	s_or_b32 exec_lo, exec_lo, s1
	v_or_b32_e32 v33, 0x300, v0
	v_cmp_gt_u32_e64 s1, s43, v33
	s_and_saveexec_b32 s2, s1
	s_cbranch_execz .LBB17_32
; %bb.31:
	v_lshlrev_b32_e32 v4, 2, v33
	global_load_dword v4, v4, s[40:41]
.LBB17_32:
	s_or_b32 exec_lo, exec_lo, s2
	v_or_b32_e32 v33, 0x400, v0
	v_cmp_gt_u32_e64 s2, s43, v33
	s_and_saveexec_b32 s3, s2
	s_cbranch_execz .LBB17_34
; %bb.33:
	v_lshlrev_b32_e32 v5, 2, v33
	global_load_dword v5, v5, s[40:41]
.LBB17_34:
	s_or_b32 exec_lo, exec_lo, s3
	v_or_b32_e32 v33, 0x500, v0
	v_cmp_gt_u32_e64 s3, s43, v33
	s_and_saveexec_b32 s8, s3
	s_cbranch_execz .LBB17_36
; %bb.35:
	v_lshlrev_b32_e32 v6, 2, v33
	global_load_dword v6, v6, s[40:41]
.LBB17_36:
	s_or_b32 exec_lo, exec_lo, s8
	v_or_b32_e32 v33, 0x600, v0
	v_cmp_gt_u32_e64 s8, s43, v33
	s_and_saveexec_b32 s9, s8
	s_cbranch_execz .LBB17_38
; %bb.37:
	v_lshlrev_b32_e32 v7, 2, v33
	global_load_dword v7, v7, s[40:41]
.LBB17_38:
	s_or_b32 exec_lo, exec_lo, s9
	v_or_b32_e32 v33, 0x700, v0
	v_cmp_gt_u32_e64 s9, s43, v33
	s_and_saveexec_b32 s10, s9
	s_cbranch_execz .LBB17_40
; %bb.39:
	v_lshlrev_b32_e32 v8, 2, v33
	global_load_dword v8, v8, s[40:41]
.LBB17_40:
	s_or_b32 exec_lo, exec_lo, s10
	v_or_b32_e32 v33, 0x800, v0
	v_cmp_gt_u32_e64 s10, s43, v33
	s_and_saveexec_b32 s11, s10
	s_cbranch_execz .LBB17_42
; %bb.41:
	v_lshlrev_b32_e32 v9, 2, v33
	global_load_dword v9, v9, s[40:41]
.LBB17_42:
	s_or_b32 exec_lo, exec_lo, s11
	v_or_b32_e32 v33, 0x900, v0
	v_cmp_gt_u32_e64 s11, s43, v33
	s_and_saveexec_b32 s12, s11
	s_cbranch_execz .LBB17_44
; %bb.43:
	v_lshlrev_b32_e32 v10, 2, v33
	global_load_dword v10, v10, s[40:41]
.LBB17_44:
	s_or_b32 exec_lo, exec_lo, s12
	v_or_b32_e32 v33, 0xa00, v0
	v_cmp_gt_u32_e64 s12, s43, v33
	s_and_saveexec_b32 s13, s12
	s_cbranch_execz .LBB17_46
; %bb.45:
	v_lshlrev_b32_e32 v11, 2, v33
	global_load_dword v11, v11, s[40:41]
.LBB17_46:
	s_or_b32 exec_lo, exec_lo, s13
	v_or_b32_e32 v33, 0xb00, v0
	v_cmp_gt_u32_e64 s13, s43, v33
	s_and_saveexec_b32 s14, s13
	s_cbranch_execz .LBB17_48
; %bb.47:
	v_lshlrev_b32_e32 v12, 2, v33
	global_load_dword v12, v12, s[40:41]
.LBB17_48:
	s_or_b32 exec_lo, exec_lo, s14
	v_or_b32_e32 v33, 0xc00, v0
	v_cmp_gt_u32_e64 s14, s43, v33
	s_and_saveexec_b32 s15, s14
	s_cbranch_execz .LBB17_50
; %bb.49:
	v_lshlrev_b32_e32 v13, 2, v33
	global_load_dword v13, v13, s[40:41]
.LBB17_50:
	s_or_b32 exec_lo, exec_lo, s15
	v_or_b32_e32 v33, 0xd00, v0
	v_cmp_gt_u32_e64 s15, s43, v33
	s_and_saveexec_b32 s16, s15
	s_cbranch_execz .LBB17_52
; %bb.51:
	v_lshlrev_b32_e32 v14, 2, v33
	global_load_dword v14, v14, s[40:41]
.LBB17_52:
	s_or_b32 exec_lo, exec_lo, s16
	v_or_b32_e32 v33, 0xe00, v0
	v_cmp_gt_u32_e64 s16, s43, v33
	s_and_saveexec_b32 s17, s16
	s_cbranch_execz .LBB17_54
; %bb.53:
	v_lshlrev_b32_e32 v15, 2, v33
	global_load_dword v15, v15, s[40:41]
.LBB17_54:
	s_or_b32 exec_lo, exec_lo, s17
	v_or_b32_e32 v33, 0xf00, v0
	v_cmp_gt_u32_e64 s17, s43, v33
	s_and_saveexec_b32 s18, s17
	s_cbranch_execz .LBB17_56
; %bb.55:
	v_lshlrev_b32_e32 v16, 2, v33
	global_load_dword v16, v16, s[40:41]
.LBB17_56:
	s_or_b32 exec_lo, exec_lo, s18
	v_or_b32_e32 v33, 0x1000, v0
	v_cmp_gt_u32_e64 s18, s43, v33
	s_and_saveexec_b32 s19, s18
	s_cbranch_execz .LBB17_58
; %bb.57:
	v_lshlrev_b32_e32 v17, 2, v33
	global_load_dword v17, v17, s[40:41]
.LBB17_58:
	s_or_b32 exec_lo, exec_lo, s19
	v_or_b32_e32 v33, 0x1100, v0
	v_cmp_gt_u32_e64 s19, s43, v33
	s_and_saveexec_b32 s20, s19
	s_cbranch_execz .LBB17_60
; %bb.59:
	v_lshlrev_b32_e32 v18, 2, v33
	global_load_dword v18, v18, s[40:41]
.LBB17_60:
	s_or_b32 exec_lo, exec_lo, s20
	v_or_b32_e32 v33, 0x1200, v0
	v_cmp_gt_u32_e64 s20, s43, v33
	s_and_saveexec_b32 s21, s20
	s_cbranch_execz .LBB17_62
; %bb.61:
	v_lshlrev_b32_e32 v19, 2, v33
	global_load_dword v19, v19, s[40:41]
.LBB17_62:
	s_or_b32 exec_lo, exec_lo, s21
	v_or_b32_e32 v33, 0x1300, v0
	v_cmp_gt_u32_e64 s21, s43, v33
	s_and_saveexec_b32 s22, s21
	s_cbranch_execz .LBB17_64
; %bb.63:
	v_lshlrev_b32_e32 v20, 2, v33
	global_load_dword v20, v20, s[40:41]
.LBB17_64:
	s_or_b32 exec_lo, exec_lo, s22
	v_or_b32_e32 v33, 0x1400, v0
	v_cmp_gt_u32_e64 s22, s43, v33
	s_and_saveexec_b32 s23, s22
	s_cbranch_execz .LBB17_66
; %bb.65:
	v_lshlrev_b32_e32 v21, 2, v33
	global_load_dword v21, v21, s[40:41]
.LBB17_66:
	s_or_b32 exec_lo, exec_lo, s23
	v_or_b32_e32 v33, 0x1500, v0
	v_cmp_gt_u32_e64 s23, s43, v33
	s_and_saveexec_b32 s24, s23
	s_cbranch_execz .LBB17_68
; %bb.67:
	v_lshlrev_b32_e32 v22, 2, v33
	global_load_dword v22, v22, s[40:41]
.LBB17_68:
	s_or_b32 exec_lo, exec_lo, s24
	v_or_b32_e32 v33, 0x1600, v0
	v_cmp_gt_u32_e64 s24, s43, v33
	s_and_saveexec_b32 s25, s24
	s_cbranch_execz .LBB17_70
; %bb.69:
	v_lshlrev_b32_e32 v23, 2, v33
	global_load_dword v23, v23, s[40:41]
.LBB17_70:
	s_or_b32 exec_lo, exec_lo, s25
	v_or_b32_e32 v33, 0x1700, v0
	v_cmp_gt_u32_e64 s25, s43, v33
	s_and_saveexec_b32 s26, s25
	s_cbranch_execz .LBB17_72
; %bb.71:
	v_lshlrev_b32_e32 v24, 2, v33
	global_load_dword v24, v24, s[40:41]
.LBB17_72:
	s_or_b32 exec_lo, exec_lo, s26
	v_or_b32_e32 v33, 0x1800, v0
	v_cmp_gt_u32_e64 s26, s43, v33
	s_and_saveexec_b32 s27, s26
	s_cbranch_execz .LBB17_74
; %bb.73:
	v_lshlrev_b32_e32 v25, 2, v33
	global_load_dword v25, v25, s[40:41]
.LBB17_74:
	s_or_b32 exec_lo, exec_lo, s27
	v_or_b32_e32 v33, 0x1900, v0
	v_cmp_gt_u32_e64 s27, s43, v33
	s_and_saveexec_b32 s28, s27
	s_cbranch_execz .LBB17_76
; %bb.75:
	v_lshlrev_b32_e32 v26, 2, v33
	global_load_dword v26, v26, s[40:41]
.LBB17_76:
	s_or_b32 exec_lo, exec_lo, s28
	v_or_b32_e32 v33, 0x1a00, v0
	v_cmp_gt_u32_e64 s28, s43, v33
	s_and_saveexec_b32 s29, s28
	s_cbranch_execz .LBB17_78
; %bb.77:
	v_lshlrev_b32_e32 v27, 2, v33
	global_load_dword v27, v27, s[40:41]
.LBB17_78:
	s_or_b32 exec_lo, exec_lo, s29
	v_or_b32_e32 v33, 0x1b00, v0
	v_cmp_gt_u32_e64 s29, s43, v33
	s_and_saveexec_b32 s30, s29
	s_cbranch_execz .LBB17_80
; %bb.79:
	v_lshlrev_b32_e32 v28, 2, v33
	global_load_dword v28, v28, s[40:41]
.LBB17_80:
	s_or_b32 exec_lo, exec_lo, s30
	v_or_b32_e32 v33, 0x1c00, v0
	v_cmp_gt_u32_e64 s30, s43, v33
	s_and_saveexec_b32 s31, s30
	s_cbranch_execz .LBB17_82
; %bb.81:
	v_lshlrev_b32_e32 v29, 2, v33
	global_load_dword v29, v29, s[40:41]
.LBB17_82:
	s_or_b32 exec_lo, exec_lo, s31
	v_or_b32_e32 v33, 0x1d00, v0
	v_cmp_gt_u32_e64 s31, s43, v33
	s_and_saveexec_b32 s33, s31
	s_cbranch_execz .LBB17_84
; %bb.83:
	v_lshlrev_b32_e32 v30, 2, v33
	global_load_dword v30, v30, s[40:41]
.LBB17_84:
	s_or_b32 exec_lo, exec_lo, s33
	v_or_b32_e32 v33, 0x1e00, v0
	v_cmp_gt_u32_e64 s33, s43, v33
	s_and_saveexec_b32 s34, s33
	s_cbranch_execz .LBB17_86
; %bb.85:
	v_lshlrev_b32_e32 v31, 2, v33
	global_load_dword v31, v31, s[40:41]
.LBB17_86:
	s_or_b32 exec_lo, exec_lo, s34
	v_or_b32_e32 v33, 0x1f00, v0
	v_cmp_gt_u32_e64 s34, s43, v33
	s_and_saveexec_b32 s44, s34
	s_cbranch_execz .LBB17_88
; %bb.87:
	v_lshlrev_b32_e32 v32, 2, v33
	global_load_dword v32, v32, s[40:41]
.LBB17_88:
	s_or_b32 exec_lo, exec_lo, s44
	s_waitcnt vmcnt(0)
	v_add_f32_e32 v2, v1, v2
	v_cndmask_b32_e32 v1, v1, v2, vcc_lo
	v_add_f32_e32 v2, v3, v1
	v_cndmask_b32_e64 v1, v1, v2, s0
	v_add_f32_e32 v2, v4, v1
	v_cndmask_b32_e64 v1, v1, v2, s1
	s_min_u32 s1, s43, 0x100
	v_add_f32_e32 v2, v5, v1
	v_cndmask_b32_e64 v1, v1, v2, s2
	v_add_f32_e32 v2, v6, v1
	v_cndmask_b32_e64 v1, v1, v2, s3
	;; [unrolled: 2-line block ×26, first 2 shown]
	v_mbcnt_lo_u32_b32 v2, -1, 0
	v_add_f32_e32 v3, v31, v1
	v_cmp_ne_u32_e32 vcc_lo, 31, v2
	v_add_nc_u32_e32 v6, 1, v2
	v_cmp_gt_u32_e64 s0, 28, v2
	v_add_nc_u32_e32 v7, 2, v2
	v_cndmask_b32_e64 v1, v1, v3, s33
	v_add_co_ci_u32_e64 v3, null, 0, v2, vcc_lo
	v_cmp_gt_u32_e32 vcc_lo, 30, v2
	v_add_f32_e32 v4, v32, v1
	v_lshlrev_b32_e32 v3, 2, v3
	v_cndmask_b32_e64 v5, 0, 2, vcc_lo
	v_cndmask_b32_e64 v1, v1, v4, s34
	v_and_b32_e32 v4, 0xe0, v0
	v_add_lshl_u32 v5, v5, v2, 2
	ds_bpermute_b32 v3, v3, v1
	v_sub_nc_u32_e64 v4, s1, v4 clamp
	v_cmp_lt_u32_e32 vcc_lo, v6, v4
	v_cndmask_b32_e64 v6, 0, 4, s0
	v_cmp_lt_u32_e64 s0, v7, v4
	v_add_nc_u32_e32 v7, 4, v2
	v_add_lshl_u32 v6, v6, v2, 2
	s_waitcnt lgkmcnt(0)
	v_add_f32_e32 v3, v1, v3
	v_cndmask_b32_e32 v3, v1, v3, vcc_lo
	ds_bpermute_b32 v5, v5, v3
	s_waitcnt lgkmcnt(0)
	v_add_f32_e32 v5, v3, v5
	v_cndmask_b32_e64 v3, v3, v5, s0
	v_cmp_gt_u32_e64 s0, 24, v2
	ds_bpermute_b32 v5, v6, v3
	v_cndmask_b32_e64 v6, 0, 8, s0
	v_cmp_lt_u32_e64 s0, v7, v4
	v_add_nc_u32_e32 v7, 8, v2
	v_add_lshl_u32 v6, v6, v2, 2
	s_waitcnt lgkmcnt(0)
	v_add_f32_e32 v5, v3, v5
	v_cndmask_b32_e64 v5, v3, v5, s0
	v_lshlrev_b32_e32 v3, 2, v2
	v_cmp_lt_u32_e64 s0, v7, v4
	v_add_nc_u32_e32 v7, 16, v2
	ds_bpermute_b32 v6, v6, v5
	v_or_b32_e32 v8, 64, v3
	s_waitcnt lgkmcnt(0)
	v_add_f32_e32 v6, v5, v6
	v_cndmask_b32_e64 v5, v5, v6, s0
	v_cmp_lt_u32_e64 s0, v7, v4
	ds_bpermute_b32 v6, v8, v5
	s_waitcnt lgkmcnt(0)
	v_add_f32_e32 v6, v5, v6
	v_cndmask_b32_e64 v4, v5, v6, s0
	s_mov_b32 s0, exec_lo
	v_cndmask_b32_e32 v1, v1, v4, vcc_lo
	v_cmpx_eq_u32_e32 0, v2
; %bb.89:
	v_lshrrev_b32_e32 v4, 3, v0
	v_and_b32_e32 v4, 28, v4
	ds_write_b32 v4, v1 offset:192
; %bb.90:
	s_or_b32 exec_lo, exec_lo, s0
	s_mov_b32 s2, exec_lo
	s_waitcnt lgkmcnt(0)
	s_barrier
	buffer_gl0_inv
	v_cmpx_gt_u32_e32 8, v0
	s_cbranch_execz .LBB17_92
; %bb.91:
	ds_read_b32 v1, v3 offset:192
	v_and_b32_e32 v4, 7, v2
	s_add_i32 s1, s1, 31
	v_or_b32_e32 v3, 16, v3
	s_lshr_b32 s1, s1, 5
	v_cmp_ne_u32_e32 vcc_lo, 7, v4
	v_add_nc_u32_e32 v7, 1, v4
	v_add_co_ci_u32_e64 v5, null, 0, v2, vcc_lo
	v_cmp_gt_u32_e32 vcc_lo, 6, v4
	v_lshlrev_b32_e32 v5, 2, v5
	v_cndmask_b32_e64 v6, 0, 2, vcc_lo
	v_cmp_gt_u32_e32 vcc_lo, s1, v7
	s_waitcnt lgkmcnt(0)
	ds_bpermute_b32 v5, v5, v1
	v_add_lshl_u32 v2, v6, v2, 2
	v_add_nc_u32_e32 v6, 2, v4
	v_add_nc_u32_e32 v4, 4, v4
	v_cmp_gt_u32_e64 s0, s1, v6
	s_waitcnt lgkmcnt(0)
	v_add_f32_e32 v5, v1, v5
	v_cndmask_b32_e32 v5, v1, v5, vcc_lo
	ds_bpermute_b32 v2, v2, v5
	s_waitcnt lgkmcnt(0)
	v_add_f32_e32 v2, v5, v2
	v_cndmask_b32_e64 v2, v5, v2, s0
	v_cmp_gt_u32_e64 s0, s1, v4
	ds_bpermute_b32 v3, v3, v2
	s_waitcnt lgkmcnt(0)
	v_add_f32_e32 v3, v2, v3
	v_cndmask_b32_e64 v2, v2, v3, s0
	v_cndmask_b32_e32 v1, v1, v2, vcc_lo
.LBB17_92:
	s_or_b32 exec_lo, exec_lo, s2
	v_cmp_eq_u32_e64 s0, 0, v0
	s_and_b32 vcc_lo, exec_lo, s42
	s_cbranch_vccnz .LBB17_15
.LBB17_93:
	s_branch .LBB17_142
.LBB17_94:
	s_mov_b32 s1, -1
                                        ; implicit-def: $vgpr1
.LBB17_95:
	s_and_b32 vcc_lo, exec_lo, s1
	s_cbranch_vccz .LBB17_133
; %bb.96:
	v_mov_b32_e32 v1, 0
	s_sub_i32 s20, s38, s0
	s_mov_b32 s0, exec_lo
	v_mov_b32_e32 v2, v1
	v_mov_b32_e32 v3, v1
	v_mov_b32_e32 v4, v1
	v_mov_b32_e32 v5, v1
	v_mov_b32_e32 v6, v1
	v_mov_b32_e32 v7, v1
	v_mov_b32_e32 v8, v1
	v_mov_b32_e32 v9, v1
	v_mov_b32_e32 v10, v1
	v_mov_b32_e32 v11, v1
	v_mov_b32_e32 v12, v1
	v_mov_b32_e32 v13, v1
	v_mov_b32_e32 v14, v1
	v_mov_b32_e32 v15, v1
	v_mov_b32_e32 v16, v1
	v_cmpx_gt_u32_e64 s20, v0
	s_cbranch_execz .LBB17_98
; %bb.97:
	v_lshlrev_b32_e32 v2, 2, v0
	v_mov_b32_e32 v17, v1
	v_mov_b32_e32 v3, v1
	;; [unrolled: 1-line block ×4, first 2 shown]
	global_load_dword v2, v2, s[18:19]
	v_mov_b32_e32 v6, v1
	v_mov_b32_e32 v7, v1
	;; [unrolled: 1-line block ×11, first 2 shown]
	s_waitcnt vmcnt(0)
	v_mov_b32_e32 v1, v2
	v_mov_b32_e32 v2, v3
	;; [unrolled: 1-line block ×16, first 2 shown]
.LBB17_98:
	s_or_b32 exec_lo, exec_lo, s0
	v_or_b32_e32 v17, 0x100, v0
	v_cmp_gt_u32_e32 vcc_lo, s20, v17
	s_and_saveexec_b32 s0, vcc_lo
	s_cbranch_execz .LBB17_100
; %bb.99:
	v_lshlrev_b32_e32 v2, 2, v0
	global_load_dword v2, v2, s[18:19] offset:1024
.LBB17_100:
	s_or_b32 exec_lo, exec_lo, s0
	v_or_b32_e32 v17, 0x200, v0
	v_cmp_gt_u32_e64 s0, s20, v17
	s_and_saveexec_b32 s1, s0
	s_cbranch_execz .LBB17_102
; %bb.101:
	v_lshlrev_b32_e32 v3, 2, v17
	global_load_dword v3, v3, s[18:19]
.LBB17_102:
	s_or_b32 exec_lo, exec_lo, s1
	v_or_b32_e32 v17, 0x300, v0
	v_cmp_gt_u32_e64 s1, s20, v17
	s_and_saveexec_b32 s2, s1
	s_cbranch_execz .LBB17_104
; %bb.103:
	v_lshlrev_b32_e32 v4, 2, v17
	global_load_dword v4, v4, s[18:19]
.LBB17_104:
	;; [unrolled: 9-line block ×14, first 2 shown]
	s_or_b32 exec_lo, exec_lo, s21
	s_waitcnt vmcnt(0)
	v_add_f32_e32 v2, v1, v2
	v_cndmask_b32_e32 v1, v1, v2, vcc_lo
	v_add_f32_e32 v2, v3, v1
	v_cndmask_b32_e64 v1, v1, v2, s0
	v_add_f32_e32 v2, v4, v1
	v_cndmask_b32_e64 v1, v1, v2, s1
	s_min_u32 s1, s20, 0x100
	v_add_f32_e32 v2, v5, v1
	v_cndmask_b32_e64 v1, v1, v2, s2
	v_add_f32_e32 v2, v6, v1
	v_cndmask_b32_e64 v1, v1, v2, s3
	;; [unrolled: 2-line block ×10, first 2 shown]
	v_mbcnt_lo_u32_b32 v2, -1, 0
	v_add_f32_e32 v3, v15, v1
	v_cmp_ne_u32_e32 vcc_lo, 31, v2
	v_add_nc_u32_e32 v6, 1, v2
	v_cmp_gt_u32_e64 s0, 28, v2
	v_add_nc_u32_e32 v7, 2, v2
	v_cndmask_b32_e64 v1, v1, v3, s16
	v_add_co_ci_u32_e64 v3, null, 0, v2, vcc_lo
	v_cmp_gt_u32_e32 vcc_lo, 30, v2
	v_add_f32_e32 v4, v16, v1
	v_lshlrev_b32_e32 v3, 2, v3
	v_cndmask_b32_e64 v5, 0, 2, vcc_lo
	v_cndmask_b32_e64 v1, v1, v4, s17
	v_and_b32_e32 v4, 0xe0, v0
	v_add_lshl_u32 v5, v5, v2, 2
	ds_bpermute_b32 v3, v3, v1
	v_sub_nc_u32_e64 v4, s1, v4 clamp
	v_cmp_lt_u32_e32 vcc_lo, v6, v4
	v_cndmask_b32_e64 v6, 0, 4, s0
	v_cmp_lt_u32_e64 s0, v7, v4
	v_add_nc_u32_e32 v7, 4, v2
	v_add_lshl_u32 v6, v6, v2, 2
	s_waitcnt lgkmcnt(0)
	v_add_f32_e32 v3, v1, v3
	v_cndmask_b32_e32 v3, v1, v3, vcc_lo
	ds_bpermute_b32 v5, v5, v3
	s_waitcnt lgkmcnt(0)
	v_add_f32_e32 v5, v3, v5
	v_cndmask_b32_e64 v3, v3, v5, s0
	v_cmp_gt_u32_e64 s0, 24, v2
	ds_bpermute_b32 v5, v6, v3
	v_cndmask_b32_e64 v6, 0, 8, s0
	v_cmp_lt_u32_e64 s0, v7, v4
	v_add_nc_u32_e32 v7, 8, v2
	v_add_lshl_u32 v6, v6, v2, 2
	s_waitcnt lgkmcnt(0)
	v_add_f32_e32 v5, v3, v5
	v_cndmask_b32_e64 v5, v3, v5, s0
	v_lshlrev_b32_e32 v3, 2, v2
	v_cmp_lt_u32_e64 s0, v7, v4
	v_add_nc_u32_e32 v7, 16, v2
	ds_bpermute_b32 v6, v6, v5
	v_or_b32_e32 v8, 64, v3
	s_waitcnt lgkmcnt(0)
	v_add_f32_e32 v6, v5, v6
	v_cndmask_b32_e64 v5, v5, v6, s0
	v_cmp_lt_u32_e64 s0, v7, v4
	ds_bpermute_b32 v6, v8, v5
	s_waitcnt lgkmcnt(0)
	v_add_f32_e32 v6, v5, v6
	v_cndmask_b32_e64 v4, v5, v6, s0
	s_mov_b32 s0, exec_lo
	v_cndmask_b32_e32 v1, v1, v4, vcc_lo
	v_cmpx_eq_u32_e32 0, v2
; %bb.129:
	v_lshrrev_b32_e32 v4, 3, v0
	v_and_b32_e32 v4, 28, v4
	ds_write_b32 v4, v1 offset:192
; %bb.130:
	s_or_b32 exec_lo, exec_lo, s0
	s_mov_b32 s2, exec_lo
	s_waitcnt lgkmcnt(0)
	s_barrier
	buffer_gl0_inv
	v_cmpx_gt_u32_e32 8, v0
	s_cbranch_execz .LBB17_132
; %bb.131:
	ds_read_b32 v1, v3 offset:192
	v_and_b32_e32 v4, 7, v2
	s_add_i32 s1, s1, 31
	v_or_b32_e32 v3, 16, v3
	s_lshr_b32 s1, s1, 5
	v_cmp_ne_u32_e32 vcc_lo, 7, v4
	v_add_nc_u32_e32 v7, 1, v4
	v_add_co_ci_u32_e64 v5, null, 0, v2, vcc_lo
	v_cmp_gt_u32_e32 vcc_lo, 6, v4
	v_lshlrev_b32_e32 v5, 2, v5
	v_cndmask_b32_e64 v6, 0, 2, vcc_lo
	v_cmp_gt_u32_e32 vcc_lo, s1, v7
	s_waitcnt lgkmcnt(0)
	ds_bpermute_b32 v5, v5, v1
	v_add_lshl_u32 v2, v6, v2, 2
	v_add_nc_u32_e32 v6, 2, v4
	v_add_nc_u32_e32 v4, 4, v4
	v_cmp_gt_u32_e64 s0, s1, v6
	s_waitcnt lgkmcnt(0)
	v_add_f32_e32 v5, v1, v5
	v_cndmask_b32_e32 v5, v1, v5, vcc_lo
	ds_bpermute_b32 v2, v2, v5
	s_waitcnt lgkmcnt(0)
	v_add_f32_e32 v2, v5, v2
	v_cndmask_b32_e64 v2, v5, v2, s0
	v_cmp_gt_u32_e64 s0, s1, v4
	ds_bpermute_b32 v3, v3, v2
	s_waitcnt lgkmcnt(0)
	v_add_f32_e32 v3, v2, v3
	v_cndmask_b32_e64 v2, v2, v3, s0
	v_cndmask_b32_e32 v1, v1, v2, vcc_lo
.LBB17_132:
	s_or_b32 exec_lo, exec_lo, s2
.LBB17_133:
	v_cmp_eq_u32_e64 s0, 0, v0
	s_branch .LBB17_142
.LBB17_134:
	s_cmp_eq_u32 s35, 8
	s_cbranch_scc0 .LBB17_141
; %bb.135:
	s_mov_b32 s7, 0
	s_lshl_b32 s0, s6, 11
	s_mov_b32 s1, s7
	s_lshr_b64 s[8:9], s[38:39], 11
	s_lshl_b64 s[2:3], s[0:1], 2
	s_add_u32 s10, s36, s2
	s_addc_u32 s11, s37, s3
	s_cmp_lg_u64 s[8:9], s[6:7]
	s_cbranch_scc0 .LBB17_143
; %bb.136:
	v_lshlrev_b32_e32 v1, 2, v0
	s_clause 0x1
	global_load_dword v7, v1, s[10:11]
	global_load_dword v8, v1, s[10:11] offset:1024
	v_add_co_u32 v5, s1, s10, v1
	v_add_co_ci_u32_e64 v6, null, s11, 0, s1
	s_mov_b32 s1, exec_lo
	v_add_co_u32 v1, vcc_lo, v5, 0x1000
	v_add_co_ci_u32_e64 v2, null, 0, v6, vcc_lo
	v_add_co_u32 v3, vcc_lo, 0x800, v5
	v_add_co_ci_u32_e64 v4, null, 0, v6, vcc_lo
	s_clause 0x1
	global_load_dword v9, v[1:2], off offset:-2048
	global_load_dword v10, v[3:4], off offset:1024
	v_add_co_u32 v3, vcc_lo, 0x1000, v5
	global_load_dword v11, v[1:2], off
	v_add_co_ci_u32_e64 v4, null, 0, v6, vcc_lo
	v_add_co_u32 v1, vcc_lo, 0x1800, v5
	v_add_co_ci_u32_e64 v2, null, 0, v6, vcc_lo
	s_clause 0x2
	global_load_dword v3, v[3:4], off offset:1024
	global_load_dword v4, v[1:2], off
	global_load_dword v1, v[1:2], off offset:1024
	s_waitcnt vmcnt(6)
	v_add_f32_e32 v2, v7, v8
	s_waitcnt vmcnt(5)
	v_add_f32_e32 v2, v2, v9
	;; [unrolled: 2-line block ×5, first 2 shown]
	v_mov_b32_e32 v3, 0
	s_waitcnt vmcnt(1)
	v_add_f32_e32 v2, v2, v4
	s_waitcnt vmcnt(0)
	v_add_f32_e32 v1, v2, v1
	v_mov_b32_dpp v2, v1 quad_perm:[1,0,3,2] row_mask:0xf bank_mask:0xf
	v_add_f32_e32 v1, v1, v2
	v_mov_b32_dpp v2, v1 quad_perm:[2,3,0,1] row_mask:0xf bank_mask:0xf
	v_add_f32_e32 v1, v1, v2
	v_mov_b32_dpp v2, v1 row_ror:4 row_mask:0xf bank_mask:0xf
	v_add_f32_e32 v1, v1, v2
	v_mov_b32_dpp v2, v1 row_ror:8 row_mask:0xf bank_mask:0xf
	v_add_f32_e32 v1, v1, v2
	ds_swizzle_b32 v2, v1 offset:swizzle(BROADCAST,32,15)
	s_waitcnt lgkmcnt(0)
	v_add_f32_e32 v1, v1, v2
	v_mbcnt_lo_u32_b32 v2, -1, 0
	ds_bpermute_b32 v1, v3, v1 offset:124
	v_cmpx_eq_u32_e32 0, v2
	s_cbranch_execz .LBB17_138
; %bb.137:
	v_lshrrev_b32_e32 v3, 3, v0
	v_and_b32_e32 v3, 28, v3
	s_waitcnt lgkmcnt(0)
	ds_write_b32 v3, v1 offset:160
.LBB17_138:
	s_or_b32 exec_lo, exec_lo, s1
	s_mov_b32 s1, exec_lo
	s_waitcnt lgkmcnt(0)
	s_barrier
	buffer_gl0_inv
	v_cmpx_gt_u32_e32 32, v0
	s_cbranch_execz .LBB17_140
; %bb.139:
	v_and_b32_e32 v1, 7, v2
	v_lshlrev_b32_e32 v3, 2, v1
	v_cmp_ne_u32_e32 vcc_lo, 7, v1
	ds_read_b32 v3, v3 offset:160
	v_add_co_ci_u32_e64 v4, null, 0, v2, vcc_lo
	v_cmp_gt_u32_e32 vcc_lo, 6, v1
	v_lshlrev_b32_e32 v4, 2, v4
	v_cndmask_b32_e64 v1, 0, 2, vcc_lo
	v_add_lshl_u32 v1, v1, v2, 2
	v_lshlrev_b32_e32 v2, 2, v2
	v_or_b32_e32 v2, 16, v2
	s_waitcnt lgkmcnt(0)
	ds_bpermute_b32 v4, v4, v3
	s_waitcnt lgkmcnt(0)
	v_add_f32_e32 v3, v3, v4
	ds_bpermute_b32 v1, v1, v3
	s_waitcnt lgkmcnt(0)
	v_add_f32_e32 v1, v3, v1
	;; [unrolled: 3-line block ×3, first 2 shown]
.LBB17_140:
	s_or_b32 exec_lo, exec_lo, s1
	s_branch .LBB17_165
.LBB17_141:
                                        ; implicit-def: $vgpr1
.LBB17_142:
	s_branch .LBB17_224
.LBB17_143:
                                        ; implicit-def: $vgpr1
	s_cbranch_execz .LBB17_165
; %bb.144:
	v_mov_b32_e32 v1, 0
	s_sub_i32 s12, s38, s0
	s_mov_b32 s0, exec_lo
	v_mov_b32_e32 v2, v1
	v_mov_b32_e32 v3, v1
	;; [unrolled: 1-line block ×7, first 2 shown]
	v_cmpx_gt_u32_e64 s12, v0
	s_cbranch_execz .LBB17_146
; %bb.145:
	v_lshlrev_b32_e32 v2, 2, v0
	v_mov_b32_e32 v9, v1
	v_mov_b32_e32 v3, v1
	;; [unrolled: 1-line block ×4, first 2 shown]
	global_load_dword v2, v2, s[10:11]
	v_mov_b32_e32 v6, v1
	v_mov_b32_e32 v7, v1
	;; [unrolled: 1-line block ×3, first 2 shown]
	s_waitcnt vmcnt(0)
	v_mov_b32_e32 v1, v2
	v_mov_b32_e32 v2, v3
	;; [unrolled: 1-line block ×8, first 2 shown]
.LBB17_146:
	s_or_b32 exec_lo, exec_lo, s0
	v_or_b32_e32 v9, 0x100, v0
	v_cmp_gt_u32_e32 vcc_lo, s12, v9
	s_and_saveexec_b32 s0, vcc_lo
	s_cbranch_execz .LBB17_148
; %bb.147:
	v_lshlrev_b32_e32 v2, 2, v0
	global_load_dword v2, v2, s[10:11] offset:1024
.LBB17_148:
	s_or_b32 exec_lo, exec_lo, s0
	v_or_b32_e32 v9, 0x200, v0
	v_cmp_gt_u32_e64 s0, s12, v9
	s_and_saveexec_b32 s1, s0
	s_cbranch_execz .LBB17_150
; %bb.149:
	v_lshlrev_b32_e32 v3, 2, v9
	global_load_dword v3, v3, s[10:11]
.LBB17_150:
	s_or_b32 exec_lo, exec_lo, s1
	v_or_b32_e32 v9, 0x300, v0
	v_cmp_gt_u32_e64 s1, s12, v9
	s_and_saveexec_b32 s2, s1
	s_cbranch_execz .LBB17_152
; %bb.151:
	v_lshlrev_b32_e32 v4, 2, v9
	global_load_dword v4, v4, s[10:11]
.LBB17_152:
	;; [unrolled: 9-line block ×6, first 2 shown]
	s_or_b32 exec_lo, exec_lo, s13
	s_waitcnt vmcnt(0)
	v_add_f32_e32 v2, v1, v2
	v_cndmask_b32_e32 v1, v1, v2, vcc_lo
	v_add_f32_e32 v2, v3, v1
	v_cndmask_b32_e64 v1, v1, v2, s0
	v_add_f32_e32 v2, v4, v1
	v_cndmask_b32_e64 v1, v1, v2, s1
	s_min_u32 s1, s12, 0x100
	v_add_f32_e32 v2, v5, v1
	v_cndmask_b32_e64 v1, v1, v2, s2
	v_add_f32_e32 v2, v6, v1
	v_cndmask_b32_e64 v1, v1, v2, s3
	v_mbcnt_lo_u32_b32 v2, -1, 0
	v_add_f32_e32 v3, v7, v1
	v_cmp_ne_u32_e32 vcc_lo, 31, v2
	v_add_nc_u32_e32 v6, 1, v2
	v_cmp_gt_u32_e64 s0, 28, v2
	v_add_nc_u32_e32 v7, 2, v2
	v_cndmask_b32_e64 v1, v1, v3, s8
	v_add_co_ci_u32_e64 v3, null, 0, v2, vcc_lo
	v_cmp_gt_u32_e32 vcc_lo, 30, v2
	v_add_f32_e32 v4, v8, v1
	v_lshlrev_b32_e32 v3, 2, v3
	v_cndmask_b32_e64 v5, 0, 2, vcc_lo
	v_cndmask_b32_e64 v1, v1, v4, s9
	v_and_b32_e32 v4, 0xe0, v0
	v_add_lshl_u32 v5, v5, v2, 2
	ds_bpermute_b32 v3, v3, v1
	v_sub_nc_u32_e64 v4, s1, v4 clamp
	v_cmp_lt_u32_e32 vcc_lo, v6, v4
	v_cndmask_b32_e64 v6, 0, 4, s0
	v_cmp_lt_u32_e64 s0, v7, v4
	v_add_nc_u32_e32 v7, 4, v2
	v_add_lshl_u32 v6, v6, v2, 2
	s_waitcnt lgkmcnt(0)
	v_add_f32_e32 v3, v1, v3
	v_cndmask_b32_e32 v3, v1, v3, vcc_lo
	ds_bpermute_b32 v5, v5, v3
	s_waitcnt lgkmcnt(0)
	v_add_f32_e32 v5, v3, v5
	v_cndmask_b32_e64 v3, v3, v5, s0
	v_cmp_gt_u32_e64 s0, 24, v2
	ds_bpermute_b32 v5, v6, v3
	v_cndmask_b32_e64 v6, 0, 8, s0
	v_cmp_lt_u32_e64 s0, v7, v4
	v_add_nc_u32_e32 v7, 8, v2
	v_add_lshl_u32 v6, v6, v2, 2
	s_waitcnt lgkmcnt(0)
	v_add_f32_e32 v5, v3, v5
	v_cndmask_b32_e64 v5, v3, v5, s0
	v_lshlrev_b32_e32 v3, 2, v2
	v_cmp_lt_u32_e64 s0, v7, v4
	v_add_nc_u32_e32 v7, 16, v2
	ds_bpermute_b32 v6, v6, v5
	v_or_b32_e32 v8, 64, v3
	s_waitcnt lgkmcnt(0)
	v_add_f32_e32 v6, v5, v6
	v_cndmask_b32_e64 v5, v5, v6, s0
	v_cmp_lt_u32_e64 s0, v7, v4
	ds_bpermute_b32 v6, v8, v5
	s_waitcnt lgkmcnt(0)
	v_add_f32_e32 v6, v5, v6
	v_cndmask_b32_e64 v4, v5, v6, s0
	s_mov_b32 s0, exec_lo
	v_cndmask_b32_e32 v1, v1, v4, vcc_lo
	v_cmpx_eq_u32_e32 0, v2
; %bb.161:
	v_lshrrev_b32_e32 v4, 3, v0
	v_and_b32_e32 v4, 28, v4
	ds_write_b32 v4, v1 offset:192
; %bb.162:
	s_or_b32 exec_lo, exec_lo, s0
	s_mov_b32 s2, exec_lo
	s_waitcnt lgkmcnt(0)
	s_barrier
	buffer_gl0_inv
	v_cmpx_gt_u32_e32 8, v0
	s_cbranch_execz .LBB17_164
; %bb.163:
	ds_read_b32 v1, v3 offset:192
	v_and_b32_e32 v4, 7, v2
	s_add_i32 s1, s1, 31
	v_or_b32_e32 v3, 16, v3
	s_lshr_b32 s1, s1, 5
	v_cmp_ne_u32_e32 vcc_lo, 7, v4
	v_add_nc_u32_e32 v7, 1, v4
	v_add_co_ci_u32_e64 v5, null, 0, v2, vcc_lo
	v_cmp_gt_u32_e32 vcc_lo, 6, v4
	v_lshlrev_b32_e32 v5, 2, v5
	v_cndmask_b32_e64 v6, 0, 2, vcc_lo
	v_cmp_gt_u32_e32 vcc_lo, s1, v7
	s_waitcnt lgkmcnt(0)
	ds_bpermute_b32 v5, v5, v1
	v_add_lshl_u32 v2, v6, v2, 2
	v_add_nc_u32_e32 v6, 2, v4
	v_add_nc_u32_e32 v4, 4, v4
	v_cmp_gt_u32_e64 s0, s1, v6
	s_waitcnt lgkmcnt(0)
	v_add_f32_e32 v5, v1, v5
	v_cndmask_b32_e32 v5, v1, v5, vcc_lo
	ds_bpermute_b32 v2, v2, v5
	s_waitcnt lgkmcnt(0)
	v_add_f32_e32 v2, v5, v2
	v_cndmask_b32_e64 v2, v5, v2, s0
	v_cmp_gt_u32_e64 s0, s1, v4
	ds_bpermute_b32 v3, v3, v2
	s_waitcnt lgkmcnt(0)
	v_add_f32_e32 v3, v2, v3
	v_cndmask_b32_e64 v2, v2, v3, s0
	v_cndmask_b32_e32 v1, v1, v2, vcc_lo
.LBB17_164:
	s_or_b32 exec_lo, exec_lo, s2
.LBB17_165:
	v_cmp_eq_u32_e64 s0, 0, v0
	s_branch .LBB17_224
.LBB17_166:
	s_cmp_gt_i32 s35, 1
	s_cbranch_scc0 .LBB17_175
; %bb.167:
	s_cmp_gt_i32 s35, 3
	s_cbranch_scc0 .LBB17_176
; %bb.168:
	s_cmp_eq_u32 s35, 4
	s_cbranch_scc0 .LBB17_177
; %bb.169:
	s_mov_b32 s7, 0
	s_lshl_b32 s0, s6, 10
	s_mov_b32 s1, s7
	s_lshr_b64 s[8:9], s[38:39], 10
	s_lshl_b64 s[2:3], s[0:1], 2
	s_add_u32 s2, s36, s2
	s_addc_u32 s3, s37, s3
	s_cmp_lg_u64 s[8:9], s[6:7]
	s_cbranch_scc0 .LBB17_179
; %bb.170:
	v_lshlrev_b32_e32 v3, 2, v0
	v_add_co_u32 v1, s1, s2, v3
	v_add_co_ci_u32_e64 v2, null, s3, 0, s1
	s_mov_b32 s1, exec_lo
	v_add_co_u32 v1, vcc_lo, 0x800, v1
	v_add_co_ci_u32_e64 v2, null, 0, v2, vcc_lo
	s_clause 0x3
	global_load_dword v4, v3, s[2:3]
	global_load_dword v3, v3, s[2:3] offset:1024
	global_load_dword v5, v[1:2], off
	global_load_dword v1, v[1:2], off offset:1024
	s_waitcnt vmcnt(2)
	v_add_f32_e32 v2, v4, v3
	v_mov_b32_e32 v3, 0
	s_waitcnt vmcnt(1)
	v_add_f32_e32 v2, v2, v5
	s_waitcnt vmcnt(0)
	v_add_f32_e32 v1, v2, v1
	v_mov_b32_dpp v2, v1 quad_perm:[1,0,3,2] row_mask:0xf bank_mask:0xf
	v_add_f32_e32 v1, v1, v2
	v_mov_b32_dpp v2, v1 quad_perm:[2,3,0,1] row_mask:0xf bank_mask:0xf
	v_add_f32_e32 v1, v1, v2
	v_mov_b32_dpp v2, v1 row_ror:4 row_mask:0xf bank_mask:0xf
	v_add_f32_e32 v1, v1, v2
	v_mov_b32_dpp v2, v1 row_ror:8 row_mask:0xf bank_mask:0xf
	v_add_f32_e32 v1, v1, v2
	ds_swizzle_b32 v2, v1 offset:swizzle(BROADCAST,32,15)
	s_waitcnt lgkmcnt(0)
	v_add_f32_e32 v1, v1, v2
	v_mbcnt_lo_u32_b32 v2, -1, 0
	ds_bpermute_b32 v1, v3, v1 offset:124
	v_cmpx_eq_u32_e32 0, v2
	s_cbranch_execz .LBB17_172
; %bb.171:
	v_lshrrev_b32_e32 v3, 3, v0
	v_and_b32_e32 v3, 28, v3
	s_waitcnt lgkmcnt(0)
	ds_write_b32 v3, v1 offset:128
.LBB17_172:
	s_or_b32 exec_lo, exec_lo, s1
	s_mov_b32 s1, exec_lo
	s_waitcnt lgkmcnt(0)
	s_barrier
	buffer_gl0_inv
	v_cmpx_gt_u32_e32 32, v0
	s_cbranch_execz .LBB17_174
; %bb.173:
	v_and_b32_e32 v1, 7, v2
	v_lshlrev_b32_e32 v3, 2, v1
	v_cmp_ne_u32_e32 vcc_lo, 7, v1
	ds_read_b32 v3, v3 offset:128
	v_add_co_ci_u32_e64 v4, null, 0, v2, vcc_lo
	v_cmp_gt_u32_e32 vcc_lo, 6, v1
	v_lshlrev_b32_e32 v4, 2, v4
	v_cndmask_b32_e64 v1, 0, 2, vcc_lo
	v_add_lshl_u32 v1, v1, v2, 2
	v_lshlrev_b32_e32 v2, 2, v2
	v_or_b32_e32 v2, 16, v2
	s_waitcnt lgkmcnt(0)
	ds_bpermute_b32 v4, v4, v3
	s_waitcnt lgkmcnt(0)
	v_add_f32_e32 v3, v3, v4
	ds_bpermute_b32 v1, v1, v3
	s_waitcnt lgkmcnt(0)
	v_add_f32_e32 v1, v3, v1
	;; [unrolled: 3-line block ×3, first 2 shown]
.LBB17_174:
	s_or_b32 exec_lo, exec_lo, s1
	s_mov_b32 s1, 0
	s_branch .LBB17_180
.LBB17_175:
                                        ; implicit-def: $vgpr1
	s_cbranch_execnz .LBB17_215
	s_branch .LBB17_224
.LBB17_176:
                                        ; implicit-def: $vgpr1
	s_cbranch_execz .LBB17_178
	s_branch .LBB17_195
.LBB17_177:
                                        ; implicit-def: $vgpr1
.LBB17_178:
	s_branch .LBB17_224
.LBB17_179:
	s_mov_b32 s1, -1
                                        ; implicit-def: $vgpr1
.LBB17_180:
	s_and_b32 vcc_lo, exec_lo, s1
	s_cbranch_vccz .LBB17_194
; %bb.181:
	v_mov_b32_e32 v1, 0
	s_sub_i32 s8, s38, s0
	s_mov_b32 s0, exec_lo
	v_mov_b32_e32 v2, v1
	v_mov_b32_e32 v3, v1
	;; [unrolled: 1-line block ×3, first 2 shown]
	v_cmpx_gt_u32_e64 s8, v0
	s_cbranch_execz .LBB17_183
; %bb.182:
	v_lshlrev_b32_e32 v2, 2, v0
	v_mov_b32_e32 v5, v1
	v_mov_b32_e32 v3, v1
	;; [unrolled: 1-line block ×3, first 2 shown]
	global_load_dword v2, v2, s[2:3]
	s_waitcnt vmcnt(0)
	v_mov_b32_e32 v1, v2
	v_mov_b32_e32 v2, v3
	;; [unrolled: 1-line block ×4, first 2 shown]
.LBB17_183:
	s_or_b32 exec_lo, exec_lo, s0
	v_or_b32_e32 v5, 0x100, v0
	v_cmp_gt_u32_e32 vcc_lo, s8, v5
	s_and_saveexec_b32 s0, vcc_lo
	s_cbranch_execz .LBB17_185
; %bb.184:
	v_lshlrev_b32_e32 v2, 2, v0
	global_load_dword v2, v2, s[2:3] offset:1024
.LBB17_185:
	s_or_b32 exec_lo, exec_lo, s0
	v_or_b32_e32 v5, 0x200, v0
	v_cmp_gt_u32_e64 s0, s8, v5
	s_and_saveexec_b32 s1, s0
	s_cbranch_execz .LBB17_187
; %bb.186:
	v_lshlrev_b32_e32 v3, 2, v5
	global_load_dword v3, v3, s[2:3]
.LBB17_187:
	s_or_b32 exec_lo, exec_lo, s1
	v_or_b32_e32 v5, 0x300, v0
	v_cmp_gt_u32_e64 s1, s8, v5
	s_and_saveexec_b32 s9, s1
	s_cbranch_execz .LBB17_189
; %bb.188:
	v_lshlrev_b32_e32 v4, 2, v5
	global_load_dword v4, v4, s[2:3]
.LBB17_189:
	s_or_b32 exec_lo, exec_lo, s9
	s_waitcnt vmcnt(0)
	v_add_f32_e32 v2, v1, v2
	v_cndmask_b32_e32 v1, v1, v2, vcc_lo
	v_mbcnt_lo_u32_b32 v2, -1, 0
	v_add_f32_e32 v3, v3, v1
	v_cmp_ne_u32_e32 vcc_lo, 31, v2
	v_add_nc_u32_e32 v6, 1, v2
	v_add_nc_u32_e32 v7, 2, v2
	v_cndmask_b32_e64 v1, v1, v3, s0
	v_add_co_ci_u32_e64 v3, null, 0, v2, vcc_lo
	v_cmp_gt_u32_e32 vcc_lo, 30, v2
	v_cmp_gt_u32_e64 s0, 28, v2
	v_add_f32_e32 v4, v4, v1
	v_lshlrev_b32_e32 v3, 2, v3
	v_cndmask_b32_e64 v5, 0, 2, vcc_lo
	v_cndmask_b32_e64 v1, v1, v4, s1
	v_and_b32_e32 v4, 0xe0, v0
	s_min_u32 s1, s8, 0x100
	v_add_lshl_u32 v5, v5, v2, 2
	ds_bpermute_b32 v3, v3, v1
	v_sub_nc_u32_e64 v4, s1, v4 clamp
	v_cmp_lt_u32_e32 vcc_lo, v6, v4
	v_cndmask_b32_e64 v6, 0, 4, s0
	v_cmp_lt_u32_e64 s0, v7, v4
	v_add_nc_u32_e32 v7, 4, v2
	v_add_lshl_u32 v6, v6, v2, 2
	s_waitcnt lgkmcnt(0)
	v_add_f32_e32 v3, v1, v3
	v_cndmask_b32_e32 v3, v1, v3, vcc_lo
	ds_bpermute_b32 v5, v5, v3
	s_waitcnt lgkmcnt(0)
	v_add_f32_e32 v5, v3, v5
	v_cndmask_b32_e64 v3, v3, v5, s0
	v_cmp_gt_u32_e64 s0, 24, v2
	ds_bpermute_b32 v5, v6, v3
	v_cndmask_b32_e64 v6, 0, 8, s0
	v_cmp_lt_u32_e64 s0, v7, v4
	v_add_nc_u32_e32 v7, 8, v2
	v_add_lshl_u32 v6, v6, v2, 2
	s_waitcnt lgkmcnt(0)
	v_add_f32_e32 v5, v3, v5
	v_cndmask_b32_e64 v5, v3, v5, s0
	v_lshlrev_b32_e32 v3, 2, v2
	v_cmp_lt_u32_e64 s0, v7, v4
	v_add_nc_u32_e32 v7, 16, v2
	ds_bpermute_b32 v6, v6, v5
	v_or_b32_e32 v8, 64, v3
	s_waitcnt lgkmcnt(0)
	v_add_f32_e32 v6, v5, v6
	v_cndmask_b32_e64 v5, v5, v6, s0
	v_cmp_lt_u32_e64 s0, v7, v4
	ds_bpermute_b32 v6, v8, v5
	s_waitcnt lgkmcnt(0)
	v_add_f32_e32 v6, v5, v6
	v_cndmask_b32_e64 v4, v5, v6, s0
	s_mov_b32 s0, exec_lo
	v_cndmask_b32_e32 v1, v1, v4, vcc_lo
	v_cmpx_eq_u32_e32 0, v2
; %bb.190:
	v_lshrrev_b32_e32 v4, 3, v0
	v_and_b32_e32 v4, 28, v4
	ds_write_b32 v4, v1 offset:192
; %bb.191:
	s_or_b32 exec_lo, exec_lo, s0
	s_mov_b32 s2, exec_lo
	s_waitcnt lgkmcnt(0)
	s_barrier
	buffer_gl0_inv
	v_cmpx_gt_u32_e32 8, v0
	s_cbranch_execz .LBB17_193
; %bb.192:
	ds_read_b32 v1, v3 offset:192
	v_and_b32_e32 v4, 7, v2
	s_add_i32 s1, s1, 31
	v_or_b32_e32 v3, 16, v3
	s_lshr_b32 s1, s1, 5
	v_cmp_ne_u32_e32 vcc_lo, 7, v4
	v_add_nc_u32_e32 v7, 1, v4
	v_add_co_ci_u32_e64 v5, null, 0, v2, vcc_lo
	v_cmp_gt_u32_e32 vcc_lo, 6, v4
	v_lshlrev_b32_e32 v5, 2, v5
	v_cndmask_b32_e64 v6, 0, 2, vcc_lo
	v_cmp_gt_u32_e32 vcc_lo, s1, v7
	s_waitcnt lgkmcnt(0)
	ds_bpermute_b32 v5, v5, v1
	v_add_lshl_u32 v2, v6, v2, 2
	v_add_nc_u32_e32 v6, 2, v4
	v_add_nc_u32_e32 v4, 4, v4
	v_cmp_gt_u32_e64 s0, s1, v6
	s_waitcnt lgkmcnt(0)
	v_add_f32_e32 v5, v1, v5
	v_cndmask_b32_e32 v5, v1, v5, vcc_lo
	ds_bpermute_b32 v2, v2, v5
	s_waitcnt lgkmcnt(0)
	v_add_f32_e32 v2, v5, v2
	v_cndmask_b32_e64 v2, v5, v2, s0
	v_cmp_gt_u32_e64 s0, s1, v4
	ds_bpermute_b32 v3, v3, v2
	s_waitcnt lgkmcnt(0)
	v_add_f32_e32 v3, v2, v3
	v_cndmask_b32_e64 v2, v2, v3, s0
	v_cndmask_b32_e32 v1, v1, v2, vcc_lo
.LBB17_193:
	s_or_b32 exec_lo, exec_lo, s2
.LBB17_194:
	v_cmp_eq_u32_e64 s0, 0, v0
	s_branch .LBB17_178
.LBB17_195:
	s_cmp_eq_u32 s35, 2
	s_cbranch_scc0 .LBB17_202
; %bb.196:
	s_mov_b32 s7, 0
	s_lshl_b32 s2, s6, 9
	s_mov_b32 s3, s7
	s_lshr_b64 s[8:9], s[38:39], 9
	s_lshl_b64 s[0:1], s[2:3], 2
	s_add_u32 s0, s36, s0
	s_addc_u32 s1, s37, s1
	s_cmp_lg_u64 s[8:9], s[6:7]
	s_cbranch_scc0 .LBB17_203
; %bb.197:
	v_lshlrev_b32_e32 v1, 2, v0
	s_mov_b32 s3, exec_lo
	s_clause 0x1
	global_load_dword v2, v1, s[0:1]
	global_load_dword v1, v1, s[0:1] offset:1024
	s_waitcnt vmcnt(0)
	v_add_f32_e32 v1, v2, v1
	v_mov_b32_dpp v2, v1 quad_perm:[1,0,3,2] row_mask:0xf bank_mask:0xf
	v_add_f32_e32 v1, v1, v2
	v_mov_b32_dpp v2, v1 quad_perm:[2,3,0,1] row_mask:0xf bank_mask:0xf
	v_add_f32_e32 v1, v1, v2
	v_mov_b32_dpp v2, v1 row_ror:4 row_mask:0xf bank_mask:0xf
	v_add_f32_e32 v1, v1, v2
	v_mov_b32_dpp v2, v1 row_ror:8 row_mask:0xf bank_mask:0xf
	v_add_f32_e32 v1, v1, v2
	ds_swizzle_b32 v2, v1 offset:swizzle(BROADCAST,32,15)
	s_waitcnt lgkmcnt(0)
	v_add_f32_e32 v1, v1, v2
	v_mov_b32_e32 v2, 0
	ds_bpermute_b32 v1, v2, v1 offset:124
	v_mbcnt_lo_u32_b32 v2, -1, 0
	v_cmpx_eq_u32_e32 0, v2
	s_cbranch_execz .LBB17_199
; %bb.198:
	v_lshrrev_b32_e32 v3, 3, v0
	v_and_b32_e32 v3, 28, v3
	s_waitcnt lgkmcnt(0)
	ds_write_b32 v3, v1 offset:64
.LBB17_199:
	s_or_b32 exec_lo, exec_lo, s3
	s_mov_b32 s3, exec_lo
	s_waitcnt lgkmcnt(0)
	s_barrier
	buffer_gl0_inv
	v_cmpx_gt_u32_e32 32, v0
	s_cbranch_execz .LBB17_201
; %bb.200:
	v_and_b32_e32 v1, 7, v2
	v_lshlrev_b32_e32 v3, 2, v1
	v_cmp_ne_u32_e32 vcc_lo, 7, v1
	ds_read_b32 v3, v3 offset:64
	v_add_co_ci_u32_e64 v4, null, 0, v2, vcc_lo
	v_cmp_gt_u32_e32 vcc_lo, 6, v1
	v_lshlrev_b32_e32 v4, 2, v4
	v_cndmask_b32_e64 v1, 0, 2, vcc_lo
	v_add_lshl_u32 v1, v1, v2, 2
	v_lshlrev_b32_e32 v2, 2, v2
	v_or_b32_e32 v2, 16, v2
	s_waitcnt lgkmcnt(0)
	ds_bpermute_b32 v4, v4, v3
	s_waitcnt lgkmcnt(0)
	v_add_f32_e32 v3, v3, v4
	ds_bpermute_b32 v1, v1, v3
	s_waitcnt lgkmcnt(0)
	v_add_f32_e32 v1, v3, v1
	;; [unrolled: 3-line block ×3, first 2 shown]
.LBB17_201:
	s_or_b32 exec_lo, exec_lo, s3
	s_mov_b32 s3, 0
	s_branch .LBB17_204
.LBB17_202:
                                        ; implicit-def: $vgpr1
	s_branch .LBB17_224
.LBB17_203:
	s_mov_b32 s3, -1
                                        ; implicit-def: $vgpr1
.LBB17_204:
	s_and_b32 vcc_lo, exec_lo, s3
	s_cbranch_vccz .LBB17_214
; %bb.205:
	v_mov_b32_e32 v1, 0
	s_sub_i32 s2, s38, s2
	s_mov_b32 s3, exec_lo
	v_mov_b32_e32 v2, v1
	v_cmpx_gt_u32_e64 s2, v0
	s_cbranch_execz .LBB17_207
; %bb.206:
	v_lshlrev_b32_e32 v2, 2, v0
	v_mov_b32_e32 v3, v1
	global_load_dword v2, v2, s[0:1]
	s_waitcnt vmcnt(0)
	v_mov_b32_e32 v1, v2
	v_mov_b32_e32 v2, v3
.LBB17_207:
	s_or_b32 exec_lo, exec_lo, s3
	v_or_b32_e32 v3, 0x100, v0
	v_cmp_gt_u32_e32 vcc_lo, s2, v3
	s_and_saveexec_b32 s3, vcc_lo
	s_cbranch_execz .LBB17_209
; %bb.208:
	v_lshlrev_b32_e32 v2, 2, v0
	global_load_dword v2, v2, s[0:1] offset:1024
.LBB17_209:
	s_or_b32 exec_lo, exec_lo, s3
	v_mbcnt_lo_u32_b32 v3, -1, 0
	s_waitcnt vmcnt(0)
	v_add_f32_e32 v2, v2, v1
	s_min_u32 s1, s2, 0x100
	v_cmp_ne_u32_e64 s0, 31, v3
	v_cndmask_b32_e32 v1, v1, v2, vcc_lo
	v_cmp_gt_u32_e32 vcc_lo, 30, v3
	v_add_nc_u32_e32 v6, 1, v3
	v_add_nc_u32_e32 v7, 2, v3
	v_add_co_ci_u32_e64 v4, null, 0, v3, s0
	v_cndmask_b32_e64 v5, 0, 2, vcc_lo
	v_cmp_gt_u32_e64 s0, 28, v3
	v_lshlrev_b32_e32 v2, 2, v4
	v_and_b32_e32 v4, 0xe0, v0
	v_add_lshl_u32 v5, v5, v3, 2
	ds_bpermute_b32 v2, v2, v1
	v_sub_nc_u32_e64 v4, s1, v4 clamp
	v_cmp_lt_u32_e32 vcc_lo, v6, v4
	v_cndmask_b32_e64 v6, 0, 4, s0
	v_cmp_lt_u32_e64 s0, v7, v4
	v_add_nc_u32_e32 v7, 4, v3
	v_add_lshl_u32 v6, v6, v3, 2
	s_waitcnt lgkmcnt(0)
	v_add_f32_e32 v2, v1, v2
	v_cndmask_b32_e32 v2, v1, v2, vcc_lo
	ds_bpermute_b32 v5, v5, v2
	s_waitcnt lgkmcnt(0)
	v_add_f32_e32 v5, v2, v5
	v_cndmask_b32_e64 v2, v2, v5, s0
	v_cmp_gt_u32_e64 s0, 24, v3
	ds_bpermute_b32 v5, v6, v2
	v_cndmask_b32_e64 v6, 0, 8, s0
	v_cmp_lt_u32_e64 s0, v7, v4
	v_add_nc_u32_e32 v7, 8, v3
	v_add_lshl_u32 v6, v6, v3, 2
	s_waitcnt lgkmcnt(0)
	v_add_f32_e32 v5, v2, v5
	v_cndmask_b32_e64 v5, v2, v5, s0
	v_lshlrev_b32_e32 v2, 2, v3
	v_cmp_lt_u32_e64 s0, v7, v4
	v_add_nc_u32_e32 v7, 16, v3
	ds_bpermute_b32 v6, v6, v5
	v_or_b32_e32 v8, 64, v2
	s_waitcnt lgkmcnt(0)
	v_add_f32_e32 v6, v5, v6
	v_cndmask_b32_e64 v5, v5, v6, s0
	v_cmp_lt_u32_e64 s0, v7, v4
	ds_bpermute_b32 v6, v8, v5
	s_waitcnt lgkmcnt(0)
	v_add_f32_e32 v6, v5, v6
	v_cndmask_b32_e64 v4, v5, v6, s0
	s_mov_b32 s0, exec_lo
	v_cndmask_b32_e32 v1, v1, v4, vcc_lo
	v_cmpx_eq_u32_e32 0, v3
; %bb.210:
	v_lshrrev_b32_e32 v4, 3, v0
	v_and_b32_e32 v4, 28, v4
	ds_write_b32 v4, v1 offset:192
; %bb.211:
	s_or_b32 exec_lo, exec_lo, s0
	s_mov_b32 s2, exec_lo
	s_waitcnt lgkmcnt(0)
	s_barrier
	buffer_gl0_inv
	v_cmpx_gt_u32_e32 8, v0
	s_cbranch_execz .LBB17_213
; %bb.212:
	ds_read_b32 v1, v2 offset:192
	v_and_b32_e32 v4, 7, v3
	s_add_i32 s1, s1, 31
	v_or_b32_e32 v2, 16, v2
	s_lshr_b32 s1, s1, 5
	v_cmp_ne_u32_e32 vcc_lo, 7, v4
	v_add_nc_u32_e32 v7, 1, v4
	v_add_co_ci_u32_e64 v5, null, 0, v3, vcc_lo
	v_cmp_gt_u32_e32 vcc_lo, 6, v4
	v_lshlrev_b32_e32 v5, 2, v5
	v_cndmask_b32_e64 v6, 0, 2, vcc_lo
	v_cmp_gt_u32_e32 vcc_lo, s1, v7
	s_waitcnt lgkmcnt(0)
	ds_bpermute_b32 v5, v5, v1
	v_add_lshl_u32 v3, v6, v3, 2
	v_add_nc_u32_e32 v6, 2, v4
	v_add_nc_u32_e32 v4, 4, v4
	v_cmp_gt_u32_e64 s0, s1, v6
	s_waitcnt lgkmcnt(0)
	v_add_f32_e32 v5, v1, v5
	v_cndmask_b32_e32 v5, v1, v5, vcc_lo
	ds_bpermute_b32 v3, v3, v5
	s_waitcnt lgkmcnt(0)
	v_add_f32_e32 v3, v5, v3
	v_cndmask_b32_e64 v3, v5, v3, s0
	v_cmp_gt_u32_e64 s0, s1, v4
	ds_bpermute_b32 v2, v2, v3
	s_waitcnt lgkmcnt(0)
	v_add_f32_e32 v2, v3, v2
	v_cndmask_b32_e64 v2, v3, v2, s0
	v_cndmask_b32_e32 v1, v1, v2, vcc_lo
.LBB17_213:
	s_or_b32 exec_lo, exec_lo, s2
.LBB17_214:
	v_cmp_eq_u32_e64 s0, 0, v0
	s_branch .LBB17_224
.LBB17_215:
	s_cmp_eq_u32 s35, 1
	s_cbranch_scc0 .LBB17_223
; %bb.216:
	s_mov_b32 s1, 0
	v_mbcnt_lo_u32_b32 v2, -1, 0
	s_lshr_b64 s[2:3], s[38:39], 8
	s_mov_b32 s7, s1
	s_lshl_b32 s0, s6, 8
	s_cmp_lg_u64 s[2:3], s[6:7]
	s_cbranch_scc0 .LBB17_227
; %bb.217:
	s_lshl_b64 s[2:3], s[0:1], 2
	v_lshlrev_b32_e32 v1, 2, v0
	s_add_u32 s2, s36, s2
	s_addc_u32 s3, s37, s3
	global_load_dword v1, v1, s[2:3]
	s_mov_b32 s2, exec_lo
	s_waitcnt vmcnt(0)
	v_mov_b32_dpp v3, v1 quad_perm:[1,0,3,2] row_mask:0xf bank_mask:0xf
	v_add_f32_e32 v1, v1, v3
	v_mov_b32_dpp v3, v1 quad_perm:[2,3,0,1] row_mask:0xf bank_mask:0xf
	v_add_f32_e32 v1, v1, v3
	v_mov_b32_dpp v3, v1 row_ror:4 row_mask:0xf bank_mask:0xf
	v_add_f32_e32 v1, v1, v3
	v_mov_b32_dpp v3, v1 row_ror:8 row_mask:0xf bank_mask:0xf
	v_add_f32_e32 v1, v1, v3
	ds_swizzle_b32 v3, v1 offset:swizzle(BROADCAST,32,15)
	s_waitcnt lgkmcnt(0)
	v_add_f32_e32 v1, v1, v3
	v_mov_b32_e32 v3, 0
	ds_bpermute_b32 v1, v3, v1 offset:124
	v_cmpx_eq_u32_e32 0, v2
	s_cbranch_execz .LBB17_219
; %bb.218:
	v_lshrrev_b32_e32 v3, 3, v0
	v_and_b32_e32 v3, 28, v3
	s_waitcnt lgkmcnt(0)
	ds_write_b32 v3, v1 offset:32
.LBB17_219:
	s_or_b32 exec_lo, exec_lo, s2
	s_mov_b32 s2, exec_lo
	s_waitcnt lgkmcnt(0)
	s_barrier
	buffer_gl0_inv
	v_cmpx_gt_u32_e32 32, v0
	s_cbranch_execz .LBB17_221
; %bb.220:
	v_and_b32_e32 v1, 7, v2
	v_lshlrev_b32_e32 v3, 2, v1
	v_cmp_ne_u32_e32 vcc_lo, 7, v1
	ds_read_b32 v3, v3 offset:32
	v_add_co_ci_u32_e64 v4, null, 0, v2, vcc_lo
	v_cmp_gt_u32_e32 vcc_lo, 6, v1
	v_lshlrev_b32_e32 v4, 2, v4
	v_cndmask_b32_e64 v1, 0, 2, vcc_lo
	v_add_lshl_u32 v1, v1, v2, 2
	s_waitcnt lgkmcnt(0)
	ds_bpermute_b32 v4, v4, v3
	s_waitcnt lgkmcnt(0)
	v_add_f32_e32 v3, v3, v4
	v_lshlrev_b32_e32 v4, 2, v2
	ds_bpermute_b32 v1, v1, v3
	s_waitcnt lgkmcnt(0)
	v_add_f32_e32 v1, v3, v1
	v_or_b32_e32 v3, 16, v4
	ds_bpermute_b32 v3, v3, v1
	s_waitcnt lgkmcnt(0)
	v_add_f32_e32 v1, v1, v3
.LBB17_221:
	s_or_b32 exec_lo, exec_lo, s2
.LBB17_222:
	v_cmp_eq_u32_e64 s0, 0, v0
	s_and_saveexec_b32 s1, s0
	s_cbranch_execnz .LBB17_225
	s_branch .LBB17_226
.LBB17_223:
                                        ; implicit-def: $vgpr1
                                        ; implicit-def: $sgpr6_sgpr7
.LBB17_224:
	s_and_saveexec_b32 s1, s0
	s_cbranch_execz .LBB17_226
.LBB17_225:
	s_clause 0x1
	s_load_dwordx2 s[0:1], s[4:5], 0x18
	s_load_dword s4, s[4:5], 0x20
	s_lshl_b64 s[2:3], s[6:7], 2
	s_waitcnt lgkmcnt(0)
	s_add_u32 s0, s0, s2
	v_add_f32_e32 v0, s4, v1
	s_addc_u32 s1, s1, s3
	s_cmp_eq_u64 s[38:39], 0
	v_mov_b32_e32 v1, 0
	s_cselect_b32 s2, -1, 0
	v_cndmask_b32_e64 v0, v0, s4, s2
	global_store_dword v1, v0, s[0:1]
.LBB17_226:
	s_endpgm
.LBB17_227:
                                        ; implicit-def: $vgpr1
	s_cbranch_execz .LBB17_222
; %bb.228:
	s_sub_i32 s2, s38, s0
	s_mov_b32 s3, exec_lo
                                        ; implicit-def: $vgpr1
	v_cmpx_gt_u32_e64 s2, v0
	s_cbranch_execz .LBB17_230
; %bb.229:
	s_lshl_b64 s[0:1], s[0:1], 2
	v_lshlrev_b32_e32 v1, 2, v0
	s_add_u32 s0, s36, s0
	s_addc_u32 s1, s37, s1
	global_load_dword v1, v1, s[0:1]
.LBB17_230:
	s_or_b32 exec_lo, exec_lo, s3
	v_cmp_ne_u32_e32 vcc_lo, 31, v2
	v_and_b32_e32 v4, 0xe0, v0
	s_min_u32 s1, s2, 0x100
	v_add_nc_u32_e32 v5, 1, v2
	v_cmp_gt_u32_e64 s0, 28, v2
	v_add_co_ci_u32_e64 v3, null, 0, v2, vcc_lo
	v_cmp_gt_u32_e32 vcc_lo, 30, v2
	v_sub_nc_u32_e64 v4, s1, v4 clamp
	v_add_nc_u32_e32 v7, 2, v2
	v_lshlrev_b32_e32 v3, 2, v3
	v_cndmask_b32_e64 v6, 0, 2, vcc_lo
	v_cmp_lt_u32_e32 vcc_lo, v5, v4
	s_waitcnt vmcnt(0)
	ds_bpermute_b32 v3, v3, v1
	v_add_lshl_u32 v6, v6, v2, 2
	s_waitcnt lgkmcnt(0)
	v_add_f32_e32 v3, v1, v3
	v_cndmask_b32_e32 v3, v1, v3, vcc_lo
	ds_bpermute_b32 v5, v6, v3
	v_cndmask_b32_e64 v6, 0, 4, s0
	v_cmp_lt_u32_e64 s0, v7, v4
	v_add_nc_u32_e32 v7, 4, v2
	v_add_lshl_u32 v6, v6, v2, 2
	s_waitcnt lgkmcnt(0)
	v_add_f32_e32 v5, v3, v5
	v_cndmask_b32_e64 v3, v3, v5, s0
	v_cmp_gt_u32_e64 s0, 24, v2
	ds_bpermute_b32 v5, v6, v3
	v_cndmask_b32_e64 v6, 0, 8, s0
	v_cmp_lt_u32_e64 s0, v7, v4
	v_add_nc_u32_e32 v7, 8, v2
	v_add_lshl_u32 v6, v6, v2, 2
	s_waitcnt lgkmcnt(0)
	v_add_f32_e32 v5, v3, v5
	v_cndmask_b32_e64 v5, v3, v5, s0
	v_lshlrev_b32_e32 v3, 2, v2
	v_cmp_lt_u32_e64 s0, v7, v4
	v_add_nc_u32_e32 v7, 16, v2
	ds_bpermute_b32 v6, v6, v5
	v_or_b32_e32 v8, 64, v3
	s_waitcnt lgkmcnt(0)
	v_add_f32_e32 v6, v5, v6
	v_cndmask_b32_e64 v5, v5, v6, s0
	v_cmp_lt_u32_e64 s0, v7, v4
	ds_bpermute_b32 v6, v8, v5
	s_waitcnt lgkmcnt(0)
	v_add_f32_e32 v6, v5, v6
	v_cndmask_b32_e64 v4, v5, v6, s0
	s_mov_b32 s0, exec_lo
	v_cndmask_b32_e32 v1, v1, v4, vcc_lo
	v_cmpx_eq_u32_e32 0, v2
; %bb.231:
	v_lshrrev_b32_e32 v4, 3, v0
	v_and_b32_e32 v4, 28, v4
	ds_write_b32 v4, v1 offset:192
; %bb.232:
	s_or_b32 exec_lo, exec_lo, s0
	s_mov_b32 s2, exec_lo
	s_waitcnt lgkmcnt(0)
	s_barrier
	buffer_gl0_inv
	v_cmpx_gt_u32_e32 8, v0
	s_cbranch_execz .LBB17_234
; %bb.233:
	ds_read_b32 v1, v3 offset:192
	v_and_b32_e32 v4, 7, v2
	s_add_i32 s1, s1, 31
	v_or_b32_e32 v3, 16, v3
	s_lshr_b32 s1, s1, 5
	v_cmp_ne_u32_e32 vcc_lo, 7, v4
	v_add_nc_u32_e32 v7, 1, v4
	v_add_co_ci_u32_e64 v5, null, 0, v2, vcc_lo
	v_cmp_gt_u32_e32 vcc_lo, 6, v4
	v_lshlrev_b32_e32 v5, 2, v5
	v_cndmask_b32_e64 v6, 0, 2, vcc_lo
	v_cmp_gt_u32_e32 vcc_lo, s1, v7
	s_waitcnt lgkmcnt(0)
	ds_bpermute_b32 v5, v5, v1
	v_add_lshl_u32 v2, v6, v2, 2
	v_add_nc_u32_e32 v6, 2, v4
	v_add_nc_u32_e32 v4, 4, v4
	v_cmp_gt_u32_e64 s0, s1, v6
	s_waitcnt lgkmcnt(0)
	v_add_f32_e32 v5, v1, v5
	v_cndmask_b32_e32 v5, v1, v5, vcc_lo
	ds_bpermute_b32 v2, v2, v5
	s_waitcnt lgkmcnt(0)
	v_add_f32_e32 v2, v5, v2
	v_cndmask_b32_e64 v2, v5, v2, s0
	v_cmp_gt_u32_e64 s0, s1, v4
	ds_bpermute_b32 v3, v3, v2
	s_waitcnt lgkmcnt(0)
	v_add_f32_e32 v3, v2, v3
	v_cndmask_b32_e64 v2, v2, v3, s0
	v_cndmask_b32_e32 v1, v1, v2, vcc_lo
.LBB17_234:
	s_or_b32 exec_lo, exec_lo, s2
	v_cmp_eq_u32_e64 s0, 0, v0
	s_and_saveexec_b32 s1, s0
	s_cbranch_execnz .LBB17_225
	s_branch .LBB17_226
	.section	.rodata,"a",@progbits
	.p2align	6, 0x0
	.amdhsa_kernel _ZN7rocprim17ROCPRIM_400000_NS6detail17trampoline_kernelINS0_14default_configENS1_22reduce_config_selectorIfEEZNS1_11reduce_implILb1ES3_PfS7_fN6thrust23THRUST_200600_302600_NS4plusIfEEEE10hipError_tPvRmT1_T2_T3_mT4_P12ihipStream_tbEUlT_E1_NS1_11comp_targetILNS1_3genE8ELNS1_11target_archE1030ELNS1_3gpuE2ELNS1_3repE0EEENS1_30default_config_static_selectorELNS0_4arch9wavefront6targetE0EEEvSF_
		.amdhsa_group_segment_fixed_size 224
		.amdhsa_private_segment_fixed_size 0
		.amdhsa_kernarg_size 40
		.amdhsa_user_sgpr_count 6
		.amdhsa_user_sgpr_private_segment_buffer 1
		.amdhsa_user_sgpr_dispatch_ptr 0
		.amdhsa_user_sgpr_queue_ptr 0
		.amdhsa_user_sgpr_kernarg_segment_ptr 1
		.amdhsa_user_sgpr_dispatch_id 0
		.amdhsa_user_sgpr_flat_scratch_init 0
		.amdhsa_user_sgpr_private_segment_size 0
		.amdhsa_wavefront_size32 1
		.amdhsa_uses_dynamic_stack 0
		.amdhsa_system_sgpr_private_segment_wavefront_offset 0
		.amdhsa_system_sgpr_workgroup_id_x 1
		.amdhsa_system_sgpr_workgroup_id_y 0
		.amdhsa_system_sgpr_workgroup_id_z 0
		.amdhsa_system_sgpr_workgroup_info 0
		.amdhsa_system_vgpr_workitem_id 0
		.amdhsa_next_free_vgpr 36
		.amdhsa_next_free_sgpr 45
		.amdhsa_reserve_vcc 1
		.amdhsa_reserve_flat_scratch 0
		.amdhsa_float_round_mode_32 0
		.amdhsa_float_round_mode_16_64 0
		.amdhsa_float_denorm_mode_32 3
		.amdhsa_float_denorm_mode_16_64 3
		.amdhsa_dx10_clamp 1
		.amdhsa_ieee_mode 1
		.amdhsa_fp16_overflow 0
		.amdhsa_workgroup_processor_mode 1
		.amdhsa_memory_ordered 1
		.amdhsa_forward_progress 1
		.amdhsa_shared_vgpr_count 0
		.amdhsa_exception_fp_ieee_invalid_op 0
		.amdhsa_exception_fp_denorm_src 0
		.amdhsa_exception_fp_ieee_div_zero 0
		.amdhsa_exception_fp_ieee_overflow 0
		.amdhsa_exception_fp_ieee_underflow 0
		.amdhsa_exception_fp_ieee_inexact 0
		.amdhsa_exception_int_div_zero 0
	.end_amdhsa_kernel
	.section	.text._ZN7rocprim17ROCPRIM_400000_NS6detail17trampoline_kernelINS0_14default_configENS1_22reduce_config_selectorIfEEZNS1_11reduce_implILb1ES3_PfS7_fN6thrust23THRUST_200600_302600_NS4plusIfEEEE10hipError_tPvRmT1_T2_T3_mT4_P12ihipStream_tbEUlT_E1_NS1_11comp_targetILNS1_3genE8ELNS1_11target_archE1030ELNS1_3gpuE2ELNS1_3repE0EEENS1_30default_config_static_selectorELNS0_4arch9wavefront6targetE0EEEvSF_,"axG",@progbits,_ZN7rocprim17ROCPRIM_400000_NS6detail17trampoline_kernelINS0_14default_configENS1_22reduce_config_selectorIfEEZNS1_11reduce_implILb1ES3_PfS7_fN6thrust23THRUST_200600_302600_NS4plusIfEEEE10hipError_tPvRmT1_T2_T3_mT4_P12ihipStream_tbEUlT_E1_NS1_11comp_targetILNS1_3genE8ELNS1_11target_archE1030ELNS1_3gpuE2ELNS1_3repE0EEENS1_30default_config_static_selectorELNS0_4arch9wavefront6targetE0EEEvSF_,comdat
.Lfunc_end17:
	.size	_ZN7rocprim17ROCPRIM_400000_NS6detail17trampoline_kernelINS0_14default_configENS1_22reduce_config_selectorIfEEZNS1_11reduce_implILb1ES3_PfS7_fN6thrust23THRUST_200600_302600_NS4plusIfEEEE10hipError_tPvRmT1_T2_T3_mT4_P12ihipStream_tbEUlT_E1_NS1_11comp_targetILNS1_3genE8ELNS1_11target_archE1030ELNS1_3gpuE2ELNS1_3repE0EEENS1_30default_config_static_selectorELNS0_4arch9wavefront6targetE0EEEvSF_, .Lfunc_end17-_ZN7rocprim17ROCPRIM_400000_NS6detail17trampoline_kernelINS0_14default_configENS1_22reduce_config_selectorIfEEZNS1_11reduce_implILb1ES3_PfS7_fN6thrust23THRUST_200600_302600_NS4plusIfEEEE10hipError_tPvRmT1_T2_T3_mT4_P12ihipStream_tbEUlT_E1_NS1_11comp_targetILNS1_3genE8ELNS1_11target_archE1030ELNS1_3gpuE2ELNS1_3repE0EEENS1_30default_config_static_selectorELNS0_4arch9wavefront6targetE0EEEvSF_
                                        ; -- End function
	.set _ZN7rocprim17ROCPRIM_400000_NS6detail17trampoline_kernelINS0_14default_configENS1_22reduce_config_selectorIfEEZNS1_11reduce_implILb1ES3_PfS7_fN6thrust23THRUST_200600_302600_NS4plusIfEEEE10hipError_tPvRmT1_T2_T3_mT4_P12ihipStream_tbEUlT_E1_NS1_11comp_targetILNS1_3genE8ELNS1_11target_archE1030ELNS1_3gpuE2ELNS1_3repE0EEENS1_30default_config_static_selectorELNS0_4arch9wavefront6targetE0EEEvSF_.num_vgpr, 36
	.set _ZN7rocprim17ROCPRIM_400000_NS6detail17trampoline_kernelINS0_14default_configENS1_22reduce_config_selectorIfEEZNS1_11reduce_implILb1ES3_PfS7_fN6thrust23THRUST_200600_302600_NS4plusIfEEEE10hipError_tPvRmT1_T2_T3_mT4_P12ihipStream_tbEUlT_E1_NS1_11comp_targetILNS1_3genE8ELNS1_11target_archE1030ELNS1_3gpuE2ELNS1_3repE0EEENS1_30default_config_static_selectorELNS0_4arch9wavefront6targetE0EEEvSF_.num_agpr, 0
	.set _ZN7rocprim17ROCPRIM_400000_NS6detail17trampoline_kernelINS0_14default_configENS1_22reduce_config_selectorIfEEZNS1_11reduce_implILb1ES3_PfS7_fN6thrust23THRUST_200600_302600_NS4plusIfEEEE10hipError_tPvRmT1_T2_T3_mT4_P12ihipStream_tbEUlT_E1_NS1_11comp_targetILNS1_3genE8ELNS1_11target_archE1030ELNS1_3gpuE2ELNS1_3repE0EEENS1_30default_config_static_selectorELNS0_4arch9wavefront6targetE0EEEvSF_.numbered_sgpr, 45
	.set _ZN7rocprim17ROCPRIM_400000_NS6detail17trampoline_kernelINS0_14default_configENS1_22reduce_config_selectorIfEEZNS1_11reduce_implILb1ES3_PfS7_fN6thrust23THRUST_200600_302600_NS4plusIfEEEE10hipError_tPvRmT1_T2_T3_mT4_P12ihipStream_tbEUlT_E1_NS1_11comp_targetILNS1_3genE8ELNS1_11target_archE1030ELNS1_3gpuE2ELNS1_3repE0EEENS1_30default_config_static_selectorELNS0_4arch9wavefront6targetE0EEEvSF_.num_named_barrier, 0
	.set _ZN7rocprim17ROCPRIM_400000_NS6detail17trampoline_kernelINS0_14default_configENS1_22reduce_config_selectorIfEEZNS1_11reduce_implILb1ES3_PfS7_fN6thrust23THRUST_200600_302600_NS4plusIfEEEE10hipError_tPvRmT1_T2_T3_mT4_P12ihipStream_tbEUlT_E1_NS1_11comp_targetILNS1_3genE8ELNS1_11target_archE1030ELNS1_3gpuE2ELNS1_3repE0EEENS1_30default_config_static_selectorELNS0_4arch9wavefront6targetE0EEEvSF_.private_seg_size, 0
	.set _ZN7rocprim17ROCPRIM_400000_NS6detail17trampoline_kernelINS0_14default_configENS1_22reduce_config_selectorIfEEZNS1_11reduce_implILb1ES3_PfS7_fN6thrust23THRUST_200600_302600_NS4plusIfEEEE10hipError_tPvRmT1_T2_T3_mT4_P12ihipStream_tbEUlT_E1_NS1_11comp_targetILNS1_3genE8ELNS1_11target_archE1030ELNS1_3gpuE2ELNS1_3repE0EEENS1_30default_config_static_selectorELNS0_4arch9wavefront6targetE0EEEvSF_.uses_vcc, 1
	.set _ZN7rocprim17ROCPRIM_400000_NS6detail17trampoline_kernelINS0_14default_configENS1_22reduce_config_selectorIfEEZNS1_11reduce_implILb1ES3_PfS7_fN6thrust23THRUST_200600_302600_NS4plusIfEEEE10hipError_tPvRmT1_T2_T3_mT4_P12ihipStream_tbEUlT_E1_NS1_11comp_targetILNS1_3genE8ELNS1_11target_archE1030ELNS1_3gpuE2ELNS1_3repE0EEENS1_30default_config_static_selectorELNS0_4arch9wavefront6targetE0EEEvSF_.uses_flat_scratch, 0
	.set _ZN7rocprim17ROCPRIM_400000_NS6detail17trampoline_kernelINS0_14default_configENS1_22reduce_config_selectorIfEEZNS1_11reduce_implILb1ES3_PfS7_fN6thrust23THRUST_200600_302600_NS4plusIfEEEE10hipError_tPvRmT1_T2_T3_mT4_P12ihipStream_tbEUlT_E1_NS1_11comp_targetILNS1_3genE8ELNS1_11target_archE1030ELNS1_3gpuE2ELNS1_3repE0EEENS1_30default_config_static_selectorELNS0_4arch9wavefront6targetE0EEEvSF_.has_dyn_sized_stack, 0
	.set _ZN7rocprim17ROCPRIM_400000_NS6detail17trampoline_kernelINS0_14default_configENS1_22reduce_config_selectorIfEEZNS1_11reduce_implILb1ES3_PfS7_fN6thrust23THRUST_200600_302600_NS4plusIfEEEE10hipError_tPvRmT1_T2_T3_mT4_P12ihipStream_tbEUlT_E1_NS1_11comp_targetILNS1_3genE8ELNS1_11target_archE1030ELNS1_3gpuE2ELNS1_3repE0EEENS1_30default_config_static_selectorELNS0_4arch9wavefront6targetE0EEEvSF_.has_recursion, 0
	.set _ZN7rocprim17ROCPRIM_400000_NS6detail17trampoline_kernelINS0_14default_configENS1_22reduce_config_selectorIfEEZNS1_11reduce_implILb1ES3_PfS7_fN6thrust23THRUST_200600_302600_NS4plusIfEEEE10hipError_tPvRmT1_T2_T3_mT4_P12ihipStream_tbEUlT_E1_NS1_11comp_targetILNS1_3genE8ELNS1_11target_archE1030ELNS1_3gpuE2ELNS1_3repE0EEENS1_30default_config_static_selectorELNS0_4arch9wavefront6targetE0EEEvSF_.has_indirect_call, 0
	.section	.AMDGPU.csdata,"",@progbits
; Kernel info:
; codeLenInByte = 11252
; TotalNumSgprs: 47
; NumVgprs: 36
; ScratchSize: 0
; MemoryBound: 0
; FloatMode: 240
; IeeeMode: 1
; LDSByteSize: 224 bytes/workgroup (compile time only)
; SGPRBlocks: 0
; VGPRBlocks: 4
; NumSGPRsForWavesPerEU: 47
; NumVGPRsForWavesPerEU: 36
; Occupancy: 16
; WaveLimiterHint : 1
; COMPUTE_PGM_RSRC2:SCRATCH_EN: 0
; COMPUTE_PGM_RSRC2:USER_SGPR: 6
; COMPUTE_PGM_RSRC2:TRAP_HANDLER: 0
; COMPUTE_PGM_RSRC2:TGID_X_EN: 1
; COMPUTE_PGM_RSRC2:TGID_Y_EN: 0
; COMPUTE_PGM_RSRC2:TGID_Z_EN: 0
; COMPUTE_PGM_RSRC2:TIDIG_COMP_CNT: 0
	.section	.text._ZN7rocprim17ROCPRIM_400000_NS6detail17trampoline_kernelINS0_14default_configENS1_22reduce_config_selectorIfEEZNS1_11reduce_implILb1ES3_N6thrust23THRUST_200600_302600_NS11hip_rocprim26transform_input_iterator_tIfNS8_17counting_iteratorIiNS8_11use_defaultESC_SC_EE11estimate_piEEPffNS8_4plusIfEEEE10hipError_tPvRmT1_T2_T3_mT4_P12ihipStream_tbEUlT_E0_NS1_11comp_targetILNS1_3genE0ELNS1_11target_archE4294967295ELNS1_3gpuE0ELNS1_3repE0EEENS1_30default_config_static_selectorELNS0_4arch9wavefront6targetE0EEEvSM_,"axG",@progbits,_ZN7rocprim17ROCPRIM_400000_NS6detail17trampoline_kernelINS0_14default_configENS1_22reduce_config_selectorIfEEZNS1_11reduce_implILb1ES3_N6thrust23THRUST_200600_302600_NS11hip_rocprim26transform_input_iterator_tIfNS8_17counting_iteratorIiNS8_11use_defaultESC_SC_EE11estimate_piEEPffNS8_4plusIfEEEE10hipError_tPvRmT1_T2_T3_mT4_P12ihipStream_tbEUlT_E0_NS1_11comp_targetILNS1_3genE0ELNS1_11target_archE4294967295ELNS1_3gpuE0ELNS1_3repE0EEENS1_30default_config_static_selectorELNS0_4arch9wavefront6targetE0EEEvSM_,comdat
	.protected	_ZN7rocprim17ROCPRIM_400000_NS6detail17trampoline_kernelINS0_14default_configENS1_22reduce_config_selectorIfEEZNS1_11reduce_implILb1ES3_N6thrust23THRUST_200600_302600_NS11hip_rocprim26transform_input_iterator_tIfNS8_17counting_iteratorIiNS8_11use_defaultESC_SC_EE11estimate_piEEPffNS8_4plusIfEEEE10hipError_tPvRmT1_T2_T3_mT4_P12ihipStream_tbEUlT_E0_NS1_11comp_targetILNS1_3genE0ELNS1_11target_archE4294967295ELNS1_3gpuE0ELNS1_3repE0EEENS1_30default_config_static_selectorELNS0_4arch9wavefront6targetE0EEEvSM_ ; -- Begin function _ZN7rocprim17ROCPRIM_400000_NS6detail17trampoline_kernelINS0_14default_configENS1_22reduce_config_selectorIfEEZNS1_11reduce_implILb1ES3_N6thrust23THRUST_200600_302600_NS11hip_rocprim26transform_input_iterator_tIfNS8_17counting_iteratorIiNS8_11use_defaultESC_SC_EE11estimate_piEEPffNS8_4plusIfEEEE10hipError_tPvRmT1_T2_T3_mT4_P12ihipStream_tbEUlT_E0_NS1_11comp_targetILNS1_3genE0ELNS1_11target_archE4294967295ELNS1_3gpuE0ELNS1_3repE0EEENS1_30default_config_static_selectorELNS0_4arch9wavefront6targetE0EEEvSM_
	.globl	_ZN7rocprim17ROCPRIM_400000_NS6detail17trampoline_kernelINS0_14default_configENS1_22reduce_config_selectorIfEEZNS1_11reduce_implILb1ES3_N6thrust23THRUST_200600_302600_NS11hip_rocprim26transform_input_iterator_tIfNS8_17counting_iteratorIiNS8_11use_defaultESC_SC_EE11estimate_piEEPffNS8_4plusIfEEEE10hipError_tPvRmT1_T2_T3_mT4_P12ihipStream_tbEUlT_E0_NS1_11comp_targetILNS1_3genE0ELNS1_11target_archE4294967295ELNS1_3gpuE0ELNS1_3repE0EEENS1_30default_config_static_selectorELNS0_4arch9wavefront6targetE0EEEvSM_
	.p2align	8
	.type	_ZN7rocprim17ROCPRIM_400000_NS6detail17trampoline_kernelINS0_14default_configENS1_22reduce_config_selectorIfEEZNS1_11reduce_implILb1ES3_N6thrust23THRUST_200600_302600_NS11hip_rocprim26transform_input_iterator_tIfNS8_17counting_iteratorIiNS8_11use_defaultESC_SC_EE11estimate_piEEPffNS8_4plusIfEEEE10hipError_tPvRmT1_T2_T3_mT4_P12ihipStream_tbEUlT_E0_NS1_11comp_targetILNS1_3genE0ELNS1_11target_archE4294967295ELNS1_3gpuE0ELNS1_3repE0EEENS1_30default_config_static_selectorELNS0_4arch9wavefront6targetE0EEEvSM_,@function
_ZN7rocprim17ROCPRIM_400000_NS6detail17trampoline_kernelINS0_14default_configENS1_22reduce_config_selectorIfEEZNS1_11reduce_implILb1ES3_N6thrust23THRUST_200600_302600_NS11hip_rocprim26transform_input_iterator_tIfNS8_17counting_iteratorIiNS8_11use_defaultESC_SC_EE11estimate_piEEPffNS8_4plusIfEEEE10hipError_tPvRmT1_T2_T3_mT4_P12ihipStream_tbEUlT_E0_NS1_11comp_targetILNS1_3genE0ELNS1_11target_archE4294967295ELNS1_3gpuE0ELNS1_3repE0EEENS1_30default_config_static_selectorELNS0_4arch9wavefront6targetE0EEEvSM_: ; @_ZN7rocprim17ROCPRIM_400000_NS6detail17trampoline_kernelINS0_14default_configENS1_22reduce_config_selectorIfEEZNS1_11reduce_implILb1ES3_N6thrust23THRUST_200600_302600_NS11hip_rocprim26transform_input_iterator_tIfNS8_17counting_iteratorIiNS8_11use_defaultESC_SC_EE11estimate_piEEPffNS8_4plusIfEEEE10hipError_tPvRmT1_T2_T3_mT4_P12ihipStream_tbEUlT_E0_NS1_11comp_targetILNS1_3genE0ELNS1_11target_archE4294967295ELNS1_3gpuE0ELNS1_3repE0EEENS1_30default_config_static_selectorELNS0_4arch9wavefront6targetE0EEEvSM_
; %bb.0:
	.section	.rodata,"a",@progbits
	.p2align	6, 0x0
	.amdhsa_kernel _ZN7rocprim17ROCPRIM_400000_NS6detail17trampoline_kernelINS0_14default_configENS1_22reduce_config_selectorIfEEZNS1_11reduce_implILb1ES3_N6thrust23THRUST_200600_302600_NS11hip_rocprim26transform_input_iterator_tIfNS8_17counting_iteratorIiNS8_11use_defaultESC_SC_EE11estimate_piEEPffNS8_4plusIfEEEE10hipError_tPvRmT1_T2_T3_mT4_P12ihipStream_tbEUlT_E0_NS1_11comp_targetILNS1_3genE0ELNS1_11target_archE4294967295ELNS1_3gpuE0ELNS1_3repE0EEENS1_30default_config_static_selectorELNS0_4arch9wavefront6targetE0EEEvSM_
		.amdhsa_group_segment_fixed_size 0
		.amdhsa_private_segment_fixed_size 0
		.amdhsa_kernarg_size 56
		.amdhsa_user_sgpr_count 6
		.amdhsa_user_sgpr_private_segment_buffer 1
		.amdhsa_user_sgpr_dispatch_ptr 0
		.amdhsa_user_sgpr_queue_ptr 0
		.amdhsa_user_sgpr_kernarg_segment_ptr 1
		.amdhsa_user_sgpr_dispatch_id 0
		.amdhsa_user_sgpr_flat_scratch_init 0
		.amdhsa_user_sgpr_private_segment_size 0
		.amdhsa_wavefront_size32 1
		.amdhsa_uses_dynamic_stack 0
		.amdhsa_system_sgpr_private_segment_wavefront_offset 0
		.amdhsa_system_sgpr_workgroup_id_x 1
		.amdhsa_system_sgpr_workgroup_id_y 0
		.amdhsa_system_sgpr_workgroup_id_z 0
		.amdhsa_system_sgpr_workgroup_info 0
		.amdhsa_system_vgpr_workitem_id 0
		.amdhsa_next_free_vgpr 1
		.amdhsa_next_free_sgpr 1
		.amdhsa_reserve_vcc 0
		.amdhsa_reserve_flat_scratch 0
		.amdhsa_float_round_mode_32 0
		.amdhsa_float_round_mode_16_64 0
		.amdhsa_float_denorm_mode_32 3
		.amdhsa_float_denorm_mode_16_64 3
		.amdhsa_dx10_clamp 1
		.amdhsa_ieee_mode 1
		.amdhsa_fp16_overflow 0
		.amdhsa_workgroup_processor_mode 1
		.amdhsa_memory_ordered 1
		.amdhsa_forward_progress 1
		.amdhsa_shared_vgpr_count 0
		.amdhsa_exception_fp_ieee_invalid_op 0
		.amdhsa_exception_fp_denorm_src 0
		.amdhsa_exception_fp_ieee_div_zero 0
		.amdhsa_exception_fp_ieee_overflow 0
		.amdhsa_exception_fp_ieee_underflow 0
		.amdhsa_exception_fp_ieee_inexact 0
		.amdhsa_exception_int_div_zero 0
	.end_amdhsa_kernel
	.section	.text._ZN7rocprim17ROCPRIM_400000_NS6detail17trampoline_kernelINS0_14default_configENS1_22reduce_config_selectorIfEEZNS1_11reduce_implILb1ES3_N6thrust23THRUST_200600_302600_NS11hip_rocprim26transform_input_iterator_tIfNS8_17counting_iteratorIiNS8_11use_defaultESC_SC_EE11estimate_piEEPffNS8_4plusIfEEEE10hipError_tPvRmT1_T2_T3_mT4_P12ihipStream_tbEUlT_E0_NS1_11comp_targetILNS1_3genE0ELNS1_11target_archE4294967295ELNS1_3gpuE0ELNS1_3repE0EEENS1_30default_config_static_selectorELNS0_4arch9wavefront6targetE0EEEvSM_,"axG",@progbits,_ZN7rocprim17ROCPRIM_400000_NS6detail17trampoline_kernelINS0_14default_configENS1_22reduce_config_selectorIfEEZNS1_11reduce_implILb1ES3_N6thrust23THRUST_200600_302600_NS11hip_rocprim26transform_input_iterator_tIfNS8_17counting_iteratorIiNS8_11use_defaultESC_SC_EE11estimate_piEEPffNS8_4plusIfEEEE10hipError_tPvRmT1_T2_T3_mT4_P12ihipStream_tbEUlT_E0_NS1_11comp_targetILNS1_3genE0ELNS1_11target_archE4294967295ELNS1_3gpuE0ELNS1_3repE0EEENS1_30default_config_static_selectorELNS0_4arch9wavefront6targetE0EEEvSM_,comdat
.Lfunc_end18:
	.size	_ZN7rocprim17ROCPRIM_400000_NS6detail17trampoline_kernelINS0_14default_configENS1_22reduce_config_selectorIfEEZNS1_11reduce_implILb1ES3_N6thrust23THRUST_200600_302600_NS11hip_rocprim26transform_input_iterator_tIfNS8_17counting_iteratorIiNS8_11use_defaultESC_SC_EE11estimate_piEEPffNS8_4plusIfEEEE10hipError_tPvRmT1_T2_T3_mT4_P12ihipStream_tbEUlT_E0_NS1_11comp_targetILNS1_3genE0ELNS1_11target_archE4294967295ELNS1_3gpuE0ELNS1_3repE0EEENS1_30default_config_static_selectorELNS0_4arch9wavefront6targetE0EEEvSM_, .Lfunc_end18-_ZN7rocprim17ROCPRIM_400000_NS6detail17trampoline_kernelINS0_14default_configENS1_22reduce_config_selectorIfEEZNS1_11reduce_implILb1ES3_N6thrust23THRUST_200600_302600_NS11hip_rocprim26transform_input_iterator_tIfNS8_17counting_iteratorIiNS8_11use_defaultESC_SC_EE11estimate_piEEPffNS8_4plusIfEEEE10hipError_tPvRmT1_T2_T3_mT4_P12ihipStream_tbEUlT_E0_NS1_11comp_targetILNS1_3genE0ELNS1_11target_archE4294967295ELNS1_3gpuE0ELNS1_3repE0EEENS1_30default_config_static_selectorELNS0_4arch9wavefront6targetE0EEEvSM_
                                        ; -- End function
	.set _ZN7rocprim17ROCPRIM_400000_NS6detail17trampoline_kernelINS0_14default_configENS1_22reduce_config_selectorIfEEZNS1_11reduce_implILb1ES3_N6thrust23THRUST_200600_302600_NS11hip_rocprim26transform_input_iterator_tIfNS8_17counting_iteratorIiNS8_11use_defaultESC_SC_EE11estimate_piEEPffNS8_4plusIfEEEE10hipError_tPvRmT1_T2_T3_mT4_P12ihipStream_tbEUlT_E0_NS1_11comp_targetILNS1_3genE0ELNS1_11target_archE4294967295ELNS1_3gpuE0ELNS1_3repE0EEENS1_30default_config_static_selectorELNS0_4arch9wavefront6targetE0EEEvSM_.num_vgpr, 0
	.set _ZN7rocprim17ROCPRIM_400000_NS6detail17trampoline_kernelINS0_14default_configENS1_22reduce_config_selectorIfEEZNS1_11reduce_implILb1ES3_N6thrust23THRUST_200600_302600_NS11hip_rocprim26transform_input_iterator_tIfNS8_17counting_iteratorIiNS8_11use_defaultESC_SC_EE11estimate_piEEPffNS8_4plusIfEEEE10hipError_tPvRmT1_T2_T3_mT4_P12ihipStream_tbEUlT_E0_NS1_11comp_targetILNS1_3genE0ELNS1_11target_archE4294967295ELNS1_3gpuE0ELNS1_3repE0EEENS1_30default_config_static_selectorELNS0_4arch9wavefront6targetE0EEEvSM_.num_agpr, 0
	.set _ZN7rocprim17ROCPRIM_400000_NS6detail17trampoline_kernelINS0_14default_configENS1_22reduce_config_selectorIfEEZNS1_11reduce_implILb1ES3_N6thrust23THRUST_200600_302600_NS11hip_rocprim26transform_input_iterator_tIfNS8_17counting_iteratorIiNS8_11use_defaultESC_SC_EE11estimate_piEEPffNS8_4plusIfEEEE10hipError_tPvRmT1_T2_T3_mT4_P12ihipStream_tbEUlT_E0_NS1_11comp_targetILNS1_3genE0ELNS1_11target_archE4294967295ELNS1_3gpuE0ELNS1_3repE0EEENS1_30default_config_static_selectorELNS0_4arch9wavefront6targetE0EEEvSM_.numbered_sgpr, 0
	.set _ZN7rocprim17ROCPRIM_400000_NS6detail17trampoline_kernelINS0_14default_configENS1_22reduce_config_selectorIfEEZNS1_11reduce_implILb1ES3_N6thrust23THRUST_200600_302600_NS11hip_rocprim26transform_input_iterator_tIfNS8_17counting_iteratorIiNS8_11use_defaultESC_SC_EE11estimate_piEEPffNS8_4plusIfEEEE10hipError_tPvRmT1_T2_T3_mT4_P12ihipStream_tbEUlT_E0_NS1_11comp_targetILNS1_3genE0ELNS1_11target_archE4294967295ELNS1_3gpuE0ELNS1_3repE0EEENS1_30default_config_static_selectorELNS0_4arch9wavefront6targetE0EEEvSM_.num_named_barrier, 0
	.set _ZN7rocprim17ROCPRIM_400000_NS6detail17trampoline_kernelINS0_14default_configENS1_22reduce_config_selectorIfEEZNS1_11reduce_implILb1ES3_N6thrust23THRUST_200600_302600_NS11hip_rocprim26transform_input_iterator_tIfNS8_17counting_iteratorIiNS8_11use_defaultESC_SC_EE11estimate_piEEPffNS8_4plusIfEEEE10hipError_tPvRmT1_T2_T3_mT4_P12ihipStream_tbEUlT_E0_NS1_11comp_targetILNS1_3genE0ELNS1_11target_archE4294967295ELNS1_3gpuE0ELNS1_3repE0EEENS1_30default_config_static_selectorELNS0_4arch9wavefront6targetE0EEEvSM_.private_seg_size, 0
	.set _ZN7rocprim17ROCPRIM_400000_NS6detail17trampoline_kernelINS0_14default_configENS1_22reduce_config_selectorIfEEZNS1_11reduce_implILb1ES3_N6thrust23THRUST_200600_302600_NS11hip_rocprim26transform_input_iterator_tIfNS8_17counting_iteratorIiNS8_11use_defaultESC_SC_EE11estimate_piEEPffNS8_4plusIfEEEE10hipError_tPvRmT1_T2_T3_mT4_P12ihipStream_tbEUlT_E0_NS1_11comp_targetILNS1_3genE0ELNS1_11target_archE4294967295ELNS1_3gpuE0ELNS1_3repE0EEENS1_30default_config_static_selectorELNS0_4arch9wavefront6targetE0EEEvSM_.uses_vcc, 0
	.set _ZN7rocprim17ROCPRIM_400000_NS6detail17trampoline_kernelINS0_14default_configENS1_22reduce_config_selectorIfEEZNS1_11reduce_implILb1ES3_N6thrust23THRUST_200600_302600_NS11hip_rocprim26transform_input_iterator_tIfNS8_17counting_iteratorIiNS8_11use_defaultESC_SC_EE11estimate_piEEPffNS8_4plusIfEEEE10hipError_tPvRmT1_T2_T3_mT4_P12ihipStream_tbEUlT_E0_NS1_11comp_targetILNS1_3genE0ELNS1_11target_archE4294967295ELNS1_3gpuE0ELNS1_3repE0EEENS1_30default_config_static_selectorELNS0_4arch9wavefront6targetE0EEEvSM_.uses_flat_scratch, 0
	.set _ZN7rocprim17ROCPRIM_400000_NS6detail17trampoline_kernelINS0_14default_configENS1_22reduce_config_selectorIfEEZNS1_11reduce_implILb1ES3_N6thrust23THRUST_200600_302600_NS11hip_rocprim26transform_input_iterator_tIfNS8_17counting_iteratorIiNS8_11use_defaultESC_SC_EE11estimate_piEEPffNS8_4plusIfEEEE10hipError_tPvRmT1_T2_T3_mT4_P12ihipStream_tbEUlT_E0_NS1_11comp_targetILNS1_3genE0ELNS1_11target_archE4294967295ELNS1_3gpuE0ELNS1_3repE0EEENS1_30default_config_static_selectorELNS0_4arch9wavefront6targetE0EEEvSM_.has_dyn_sized_stack, 0
	.set _ZN7rocprim17ROCPRIM_400000_NS6detail17trampoline_kernelINS0_14default_configENS1_22reduce_config_selectorIfEEZNS1_11reduce_implILb1ES3_N6thrust23THRUST_200600_302600_NS11hip_rocprim26transform_input_iterator_tIfNS8_17counting_iteratorIiNS8_11use_defaultESC_SC_EE11estimate_piEEPffNS8_4plusIfEEEE10hipError_tPvRmT1_T2_T3_mT4_P12ihipStream_tbEUlT_E0_NS1_11comp_targetILNS1_3genE0ELNS1_11target_archE4294967295ELNS1_3gpuE0ELNS1_3repE0EEENS1_30default_config_static_selectorELNS0_4arch9wavefront6targetE0EEEvSM_.has_recursion, 0
	.set _ZN7rocprim17ROCPRIM_400000_NS6detail17trampoline_kernelINS0_14default_configENS1_22reduce_config_selectorIfEEZNS1_11reduce_implILb1ES3_N6thrust23THRUST_200600_302600_NS11hip_rocprim26transform_input_iterator_tIfNS8_17counting_iteratorIiNS8_11use_defaultESC_SC_EE11estimate_piEEPffNS8_4plusIfEEEE10hipError_tPvRmT1_T2_T3_mT4_P12ihipStream_tbEUlT_E0_NS1_11comp_targetILNS1_3genE0ELNS1_11target_archE4294967295ELNS1_3gpuE0ELNS1_3repE0EEENS1_30default_config_static_selectorELNS0_4arch9wavefront6targetE0EEEvSM_.has_indirect_call, 0
	.section	.AMDGPU.csdata,"",@progbits
; Kernel info:
; codeLenInByte = 0
; TotalNumSgprs: 0
; NumVgprs: 0
; ScratchSize: 0
; MemoryBound: 0
; FloatMode: 240
; IeeeMode: 1
; LDSByteSize: 0 bytes/workgroup (compile time only)
; SGPRBlocks: 0
; VGPRBlocks: 0
; NumSGPRsForWavesPerEU: 1
; NumVGPRsForWavesPerEU: 1
; Occupancy: 16
; WaveLimiterHint : 0
; COMPUTE_PGM_RSRC2:SCRATCH_EN: 0
; COMPUTE_PGM_RSRC2:USER_SGPR: 6
; COMPUTE_PGM_RSRC2:TRAP_HANDLER: 0
; COMPUTE_PGM_RSRC2:TGID_X_EN: 1
; COMPUTE_PGM_RSRC2:TGID_Y_EN: 0
; COMPUTE_PGM_RSRC2:TGID_Z_EN: 0
; COMPUTE_PGM_RSRC2:TIDIG_COMP_CNT: 0
	.section	.text._ZN7rocprim17ROCPRIM_400000_NS6detail17trampoline_kernelINS0_14default_configENS1_22reduce_config_selectorIfEEZNS1_11reduce_implILb1ES3_N6thrust23THRUST_200600_302600_NS11hip_rocprim26transform_input_iterator_tIfNS8_17counting_iteratorIiNS8_11use_defaultESC_SC_EE11estimate_piEEPffNS8_4plusIfEEEE10hipError_tPvRmT1_T2_T3_mT4_P12ihipStream_tbEUlT_E0_NS1_11comp_targetILNS1_3genE5ELNS1_11target_archE942ELNS1_3gpuE9ELNS1_3repE0EEENS1_30default_config_static_selectorELNS0_4arch9wavefront6targetE0EEEvSM_,"axG",@progbits,_ZN7rocprim17ROCPRIM_400000_NS6detail17trampoline_kernelINS0_14default_configENS1_22reduce_config_selectorIfEEZNS1_11reduce_implILb1ES3_N6thrust23THRUST_200600_302600_NS11hip_rocprim26transform_input_iterator_tIfNS8_17counting_iteratorIiNS8_11use_defaultESC_SC_EE11estimate_piEEPffNS8_4plusIfEEEE10hipError_tPvRmT1_T2_T3_mT4_P12ihipStream_tbEUlT_E0_NS1_11comp_targetILNS1_3genE5ELNS1_11target_archE942ELNS1_3gpuE9ELNS1_3repE0EEENS1_30default_config_static_selectorELNS0_4arch9wavefront6targetE0EEEvSM_,comdat
	.protected	_ZN7rocprim17ROCPRIM_400000_NS6detail17trampoline_kernelINS0_14default_configENS1_22reduce_config_selectorIfEEZNS1_11reduce_implILb1ES3_N6thrust23THRUST_200600_302600_NS11hip_rocprim26transform_input_iterator_tIfNS8_17counting_iteratorIiNS8_11use_defaultESC_SC_EE11estimate_piEEPffNS8_4plusIfEEEE10hipError_tPvRmT1_T2_T3_mT4_P12ihipStream_tbEUlT_E0_NS1_11comp_targetILNS1_3genE5ELNS1_11target_archE942ELNS1_3gpuE9ELNS1_3repE0EEENS1_30default_config_static_selectorELNS0_4arch9wavefront6targetE0EEEvSM_ ; -- Begin function _ZN7rocprim17ROCPRIM_400000_NS6detail17trampoline_kernelINS0_14default_configENS1_22reduce_config_selectorIfEEZNS1_11reduce_implILb1ES3_N6thrust23THRUST_200600_302600_NS11hip_rocprim26transform_input_iterator_tIfNS8_17counting_iteratorIiNS8_11use_defaultESC_SC_EE11estimate_piEEPffNS8_4plusIfEEEE10hipError_tPvRmT1_T2_T3_mT4_P12ihipStream_tbEUlT_E0_NS1_11comp_targetILNS1_3genE5ELNS1_11target_archE942ELNS1_3gpuE9ELNS1_3repE0EEENS1_30default_config_static_selectorELNS0_4arch9wavefront6targetE0EEEvSM_
	.globl	_ZN7rocprim17ROCPRIM_400000_NS6detail17trampoline_kernelINS0_14default_configENS1_22reduce_config_selectorIfEEZNS1_11reduce_implILb1ES3_N6thrust23THRUST_200600_302600_NS11hip_rocprim26transform_input_iterator_tIfNS8_17counting_iteratorIiNS8_11use_defaultESC_SC_EE11estimate_piEEPffNS8_4plusIfEEEE10hipError_tPvRmT1_T2_T3_mT4_P12ihipStream_tbEUlT_E0_NS1_11comp_targetILNS1_3genE5ELNS1_11target_archE942ELNS1_3gpuE9ELNS1_3repE0EEENS1_30default_config_static_selectorELNS0_4arch9wavefront6targetE0EEEvSM_
	.p2align	8
	.type	_ZN7rocprim17ROCPRIM_400000_NS6detail17trampoline_kernelINS0_14default_configENS1_22reduce_config_selectorIfEEZNS1_11reduce_implILb1ES3_N6thrust23THRUST_200600_302600_NS11hip_rocprim26transform_input_iterator_tIfNS8_17counting_iteratorIiNS8_11use_defaultESC_SC_EE11estimate_piEEPffNS8_4plusIfEEEE10hipError_tPvRmT1_T2_T3_mT4_P12ihipStream_tbEUlT_E0_NS1_11comp_targetILNS1_3genE5ELNS1_11target_archE942ELNS1_3gpuE9ELNS1_3repE0EEENS1_30default_config_static_selectorELNS0_4arch9wavefront6targetE0EEEvSM_,@function
_ZN7rocprim17ROCPRIM_400000_NS6detail17trampoline_kernelINS0_14default_configENS1_22reduce_config_selectorIfEEZNS1_11reduce_implILb1ES3_N6thrust23THRUST_200600_302600_NS11hip_rocprim26transform_input_iterator_tIfNS8_17counting_iteratorIiNS8_11use_defaultESC_SC_EE11estimate_piEEPffNS8_4plusIfEEEE10hipError_tPvRmT1_T2_T3_mT4_P12ihipStream_tbEUlT_E0_NS1_11comp_targetILNS1_3genE5ELNS1_11target_archE942ELNS1_3gpuE9ELNS1_3repE0EEENS1_30default_config_static_selectorELNS0_4arch9wavefront6targetE0EEEvSM_: ; @_ZN7rocprim17ROCPRIM_400000_NS6detail17trampoline_kernelINS0_14default_configENS1_22reduce_config_selectorIfEEZNS1_11reduce_implILb1ES3_N6thrust23THRUST_200600_302600_NS11hip_rocprim26transform_input_iterator_tIfNS8_17counting_iteratorIiNS8_11use_defaultESC_SC_EE11estimate_piEEPffNS8_4plusIfEEEE10hipError_tPvRmT1_T2_T3_mT4_P12ihipStream_tbEUlT_E0_NS1_11comp_targetILNS1_3genE5ELNS1_11target_archE942ELNS1_3gpuE9ELNS1_3repE0EEENS1_30default_config_static_selectorELNS0_4arch9wavefront6targetE0EEEvSM_
; %bb.0:
	.section	.rodata,"a",@progbits
	.p2align	6, 0x0
	.amdhsa_kernel _ZN7rocprim17ROCPRIM_400000_NS6detail17trampoline_kernelINS0_14default_configENS1_22reduce_config_selectorIfEEZNS1_11reduce_implILb1ES3_N6thrust23THRUST_200600_302600_NS11hip_rocprim26transform_input_iterator_tIfNS8_17counting_iteratorIiNS8_11use_defaultESC_SC_EE11estimate_piEEPffNS8_4plusIfEEEE10hipError_tPvRmT1_T2_T3_mT4_P12ihipStream_tbEUlT_E0_NS1_11comp_targetILNS1_3genE5ELNS1_11target_archE942ELNS1_3gpuE9ELNS1_3repE0EEENS1_30default_config_static_selectorELNS0_4arch9wavefront6targetE0EEEvSM_
		.amdhsa_group_segment_fixed_size 0
		.amdhsa_private_segment_fixed_size 0
		.amdhsa_kernarg_size 56
		.amdhsa_user_sgpr_count 6
		.amdhsa_user_sgpr_private_segment_buffer 1
		.amdhsa_user_sgpr_dispatch_ptr 0
		.amdhsa_user_sgpr_queue_ptr 0
		.amdhsa_user_sgpr_kernarg_segment_ptr 1
		.amdhsa_user_sgpr_dispatch_id 0
		.amdhsa_user_sgpr_flat_scratch_init 0
		.amdhsa_user_sgpr_private_segment_size 0
		.amdhsa_wavefront_size32 1
		.amdhsa_uses_dynamic_stack 0
		.amdhsa_system_sgpr_private_segment_wavefront_offset 0
		.amdhsa_system_sgpr_workgroup_id_x 1
		.amdhsa_system_sgpr_workgroup_id_y 0
		.amdhsa_system_sgpr_workgroup_id_z 0
		.amdhsa_system_sgpr_workgroup_info 0
		.amdhsa_system_vgpr_workitem_id 0
		.amdhsa_next_free_vgpr 1
		.amdhsa_next_free_sgpr 1
		.amdhsa_reserve_vcc 0
		.amdhsa_reserve_flat_scratch 0
		.amdhsa_float_round_mode_32 0
		.amdhsa_float_round_mode_16_64 0
		.amdhsa_float_denorm_mode_32 3
		.amdhsa_float_denorm_mode_16_64 3
		.amdhsa_dx10_clamp 1
		.amdhsa_ieee_mode 1
		.amdhsa_fp16_overflow 0
		.amdhsa_workgroup_processor_mode 1
		.amdhsa_memory_ordered 1
		.amdhsa_forward_progress 1
		.amdhsa_shared_vgpr_count 0
		.amdhsa_exception_fp_ieee_invalid_op 0
		.amdhsa_exception_fp_denorm_src 0
		.amdhsa_exception_fp_ieee_div_zero 0
		.amdhsa_exception_fp_ieee_overflow 0
		.amdhsa_exception_fp_ieee_underflow 0
		.amdhsa_exception_fp_ieee_inexact 0
		.amdhsa_exception_int_div_zero 0
	.end_amdhsa_kernel
	.section	.text._ZN7rocprim17ROCPRIM_400000_NS6detail17trampoline_kernelINS0_14default_configENS1_22reduce_config_selectorIfEEZNS1_11reduce_implILb1ES3_N6thrust23THRUST_200600_302600_NS11hip_rocprim26transform_input_iterator_tIfNS8_17counting_iteratorIiNS8_11use_defaultESC_SC_EE11estimate_piEEPffNS8_4plusIfEEEE10hipError_tPvRmT1_T2_T3_mT4_P12ihipStream_tbEUlT_E0_NS1_11comp_targetILNS1_3genE5ELNS1_11target_archE942ELNS1_3gpuE9ELNS1_3repE0EEENS1_30default_config_static_selectorELNS0_4arch9wavefront6targetE0EEEvSM_,"axG",@progbits,_ZN7rocprim17ROCPRIM_400000_NS6detail17trampoline_kernelINS0_14default_configENS1_22reduce_config_selectorIfEEZNS1_11reduce_implILb1ES3_N6thrust23THRUST_200600_302600_NS11hip_rocprim26transform_input_iterator_tIfNS8_17counting_iteratorIiNS8_11use_defaultESC_SC_EE11estimate_piEEPffNS8_4plusIfEEEE10hipError_tPvRmT1_T2_T3_mT4_P12ihipStream_tbEUlT_E0_NS1_11comp_targetILNS1_3genE5ELNS1_11target_archE942ELNS1_3gpuE9ELNS1_3repE0EEENS1_30default_config_static_selectorELNS0_4arch9wavefront6targetE0EEEvSM_,comdat
.Lfunc_end19:
	.size	_ZN7rocprim17ROCPRIM_400000_NS6detail17trampoline_kernelINS0_14default_configENS1_22reduce_config_selectorIfEEZNS1_11reduce_implILb1ES3_N6thrust23THRUST_200600_302600_NS11hip_rocprim26transform_input_iterator_tIfNS8_17counting_iteratorIiNS8_11use_defaultESC_SC_EE11estimate_piEEPffNS8_4plusIfEEEE10hipError_tPvRmT1_T2_T3_mT4_P12ihipStream_tbEUlT_E0_NS1_11comp_targetILNS1_3genE5ELNS1_11target_archE942ELNS1_3gpuE9ELNS1_3repE0EEENS1_30default_config_static_selectorELNS0_4arch9wavefront6targetE0EEEvSM_, .Lfunc_end19-_ZN7rocprim17ROCPRIM_400000_NS6detail17trampoline_kernelINS0_14default_configENS1_22reduce_config_selectorIfEEZNS1_11reduce_implILb1ES3_N6thrust23THRUST_200600_302600_NS11hip_rocprim26transform_input_iterator_tIfNS8_17counting_iteratorIiNS8_11use_defaultESC_SC_EE11estimate_piEEPffNS8_4plusIfEEEE10hipError_tPvRmT1_T2_T3_mT4_P12ihipStream_tbEUlT_E0_NS1_11comp_targetILNS1_3genE5ELNS1_11target_archE942ELNS1_3gpuE9ELNS1_3repE0EEENS1_30default_config_static_selectorELNS0_4arch9wavefront6targetE0EEEvSM_
                                        ; -- End function
	.set _ZN7rocprim17ROCPRIM_400000_NS6detail17trampoline_kernelINS0_14default_configENS1_22reduce_config_selectorIfEEZNS1_11reduce_implILb1ES3_N6thrust23THRUST_200600_302600_NS11hip_rocprim26transform_input_iterator_tIfNS8_17counting_iteratorIiNS8_11use_defaultESC_SC_EE11estimate_piEEPffNS8_4plusIfEEEE10hipError_tPvRmT1_T2_T3_mT4_P12ihipStream_tbEUlT_E0_NS1_11comp_targetILNS1_3genE5ELNS1_11target_archE942ELNS1_3gpuE9ELNS1_3repE0EEENS1_30default_config_static_selectorELNS0_4arch9wavefront6targetE0EEEvSM_.num_vgpr, 0
	.set _ZN7rocprim17ROCPRIM_400000_NS6detail17trampoline_kernelINS0_14default_configENS1_22reduce_config_selectorIfEEZNS1_11reduce_implILb1ES3_N6thrust23THRUST_200600_302600_NS11hip_rocprim26transform_input_iterator_tIfNS8_17counting_iteratorIiNS8_11use_defaultESC_SC_EE11estimate_piEEPffNS8_4plusIfEEEE10hipError_tPvRmT1_T2_T3_mT4_P12ihipStream_tbEUlT_E0_NS1_11comp_targetILNS1_3genE5ELNS1_11target_archE942ELNS1_3gpuE9ELNS1_3repE0EEENS1_30default_config_static_selectorELNS0_4arch9wavefront6targetE0EEEvSM_.num_agpr, 0
	.set _ZN7rocprim17ROCPRIM_400000_NS6detail17trampoline_kernelINS0_14default_configENS1_22reduce_config_selectorIfEEZNS1_11reduce_implILb1ES3_N6thrust23THRUST_200600_302600_NS11hip_rocprim26transform_input_iterator_tIfNS8_17counting_iteratorIiNS8_11use_defaultESC_SC_EE11estimate_piEEPffNS8_4plusIfEEEE10hipError_tPvRmT1_T2_T3_mT4_P12ihipStream_tbEUlT_E0_NS1_11comp_targetILNS1_3genE5ELNS1_11target_archE942ELNS1_3gpuE9ELNS1_3repE0EEENS1_30default_config_static_selectorELNS0_4arch9wavefront6targetE0EEEvSM_.numbered_sgpr, 0
	.set _ZN7rocprim17ROCPRIM_400000_NS6detail17trampoline_kernelINS0_14default_configENS1_22reduce_config_selectorIfEEZNS1_11reduce_implILb1ES3_N6thrust23THRUST_200600_302600_NS11hip_rocprim26transform_input_iterator_tIfNS8_17counting_iteratorIiNS8_11use_defaultESC_SC_EE11estimate_piEEPffNS8_4plusIfEEEE10hipError_tPvRmT1_T2_T3_mT4_P12ihipStream_tbEUlT_E0_NS1_11comp_targetILNS1_3genE5ELNS1_11target_archE942ELNS1_3gpuE9ELNS1_3repE0EEENS1_30default_config_static_selectorELNS0_4arch9wavefront6targetE0EEEvSM_.num_named_barrier, 0
	.set _ZN7rocprim17ROCPRIM_400000_NS6detail17trampoline_kernelINS0_14default_configENS1_22reduce_config_selectorIfEEZNS1_11reduce_implILb1ES3_N6thrust23THRUST_200600_302600_NS11hip_rocprim26transform_input_iterator_tIfNS8_17counting_iteratorIiNS8_11use_defaultESC_SC_EE11estimate_piEEPffNS8_4plusIfEEEE10hipError_tPvRmT1_T2_T3_mT4_P12ihipStream_tbEUlT_E0_NS1_11comp_targetILNS1_3genE5ELNS1_11target_archE942ELNS1_3gpuE9ELNS1_3repE0EEENS1_30default_config_static_selectorELNS0_4arch9wavefront6targetE0EEEvSM_.private_seg_size, 0
	.set _ZN7rocprim17ROCPRIM_400000_NS6detail17trampoline_kernelINS0_14default_configENS1_22reduce_config_selectorIfEEZNS1_11reduce_implILb1ES3_N6thrust23THRUST_200600_302600_NS11hip_rocprim26transform_input_iterator_tIfNS8_17counting_iteratorIiNS8_11use_defaultESC_SC_EE11estimate_piEEPffNS8_4plusIfEEEE10hipError_tPvRmT1_T2_T3_mT4_P12ihipStream_tbEUlT_E0_NS1_11comp_targetILNS1_3genE5ELNS1_11target_archE942ELNS1_3gpuE9ELNS1_3repE0EEENS1_30default_config_static_selectorELNS0_4arch9wavefront6targetE0EEEvSM_.uses_vcc, 0
	.set _ZN7rocprim17ROCPRIM_400000_NS6detail17trampoline_kernelINS0_14default_configENS1_22reduce_config_selectorIfEEZNS1_11reduce_implILb1ES3_N6thrust23THRUST_200600_302600_NS11hip_rocprim26transform_input_iterator_tIfNS8_17counting_iteratorIiNS8_11use_defaultESC_SC_EE11estimate_piEEPffNS8_4plusIfEEEE10hipError_tPvRmT1_T2_T3_mT4_P12ihipStream_tbEUlT_E0_NS1_11comp_targetILNS1_3genE5ELNS1_11target_archE942ELNS1_3gpuE9ELNS1_3repE0EEENS1_30default_config_static_selectorELNS0_4arch9wavefront6targetE0EEEvSM_.uses_flat_scratch, 0
	.set _ZN7rocprim17ROCPRIM_400000_NS6detail17trampoline_kernelINS0_14default_configENS1_22reduce_config_selectorIfEEZNS1_11reduce_implILb1ES3_N6thrust23THRUST_200600_302600_NS11hip_rocprim26transform_input_iterator_tIfNS8_17counting_iteratorIiNS8_11use_defaultESC_SC_EE11estimate_piEEPffNS8_4plusIfEEEE10hipError_tPvRmT1_T2_T3_mT4_P12ihipStream_tbEUlT_E0_NS1_11comp_targetILNS1_3genE5ELNS1_11target_archE942ELNS1_3gpuE9ELNS1_3repE0EEENS1_30default_config_static_selectorELNS0_4arch9wavefront6targetE0EEEvSM_.has_dyn_sized_stack, 0
	.set _ZN7rocprim17ROCPRIM_400000_NS6detail17trampoline_kernelINS0_14default_configENS1_22reduce_config_selectorIfEEZNS1_11reduce_implILb1ES3_N6thrust23THRUST_200600_302600_NS11hip_rocprim26transform_input_iterator_tIfNS8_17counting_iteratorIiNS8_11use_defaultESC_SC_EE11estimate_piEEPffNS8_4plusIfEEEE10hipError_tPvRmT1_T2_T3_mT4_P12ihipStream_tbEUlT_E0_NS1_11comp_targetILNS1_3genE5ELNS1_11target_archE942ELNS1_3gpuE9ELNS1_3repE0EEENS1_30default_config_static_selectorELNS0_4arch9wavefront6targetE0EEEvSM_.has_recursion, 0
	.set _ZN7rocprim17ROCPRIM_400000_NS6detail17trampoline_kernelINS0_14default_configENS1_22reduce_config_selectorIfEEZNS1_11reduce_implILb1ES3_N6thrust23THRUST_200600_302600_NS11hip_rocprim26transform_input_iterator_tIfNS8_17counting_iteratorIiNS8_11use_defaultESC_SC_EE11estimate_piEEPffNS8_4plusIfEEEE10hipError_tPvRmT1_T2_T3_mT4_P12ihipStream_tbEUlT_E0_NS1_11comp_targetILNS1_3genE5ELNS1_11target_archE942ELNS1_3gpuE9ELNS1_3repE0EEENS1_30default_config_static_selectorELNS0_4arch9wavefront6targetE0EEEvSM_.has_indirect_call, 0
	.section	.AMDGPU.csdata,"",@progbits
; Kernel info:
; codeLenInByte = 0
; TotalNumSgprs: 0
; NumVgprs: 0
; ScratchSize: 0
; MemoryBound: 0
; FloatMode: 240
; IeeeMode: 1
; LDSByteSize: 0 bytes/workgroup (compile time only)
; SGPRBlocks: 0
; VGPRBlocks: 0
; NumSGPRsForWavesPerEU: 1
; NumVGPRsForWavesPerEU: 1
; Occupancy: 16
; WaveLimiterHint : 0
; COMPUTE_PGM_RSRC2:SCRATCH_EN: 0
; COMPUTE_PGM_RSRC2:USER_SGPR: 6
; COMPUTE_PGM_RSRC2:TRAP_HANDLER: 0
; COMPUTE_PGM_RSRC2:TGID_X_EN: 1
; COMPUTE_PGM_RSRC2:TGID_Y_EN: 0
; COMPUTE_PGM_RSRC2:TGID_Z_EN: 0
; COMPUTE_PGM_RSRC2:TIDIG_COMP_CNT: 0
	.section	.text._ZN7rocprim17ROCPRIM_400000_NS6detail17trampoline_kernelINS0_14default_configENS1_22reduce_config_selectorIfEEZNS1_11reduce_implILb1ES3_N6thrust23THRUST_200600_302600_NS11hip_rocprim26transform_input_iterator_tIfNS8_17counting_iteratorIiNS8_11use_defaultESC_SC_EE11estimate_piEEPffNS8_4plusIfEEEE10hipError_tPvRmT1_T2_T3_mT4_P12ihipStream_tbEUlT_E0_NS1_11comp_targetILNS1_3genE4ELNS1_11target_archE910ELNS1_3gpuE8ELNS1_3repE0EEENS1_30default_config_static_selectorELNS0_4arch9wavefront6targetE0EEEvSM_,"axG",@progbits,_ZN7rocprim17ROCPRIM_400000_NS6detail17trampoline_kernelINS0_14default_configENS1_22reduce_config_selectorIfEEZNS1_11reduce_implILb1ES3_N6thrust23THRUST_200600_302600_NS11hip_rocprim26transform_input_iterator_tIfNS8_17counting_iteratorIiNS8_11use_defaultESC_SC_EE11estimate_piEEPffNS8_4plusIfEEEE10hipError_tPvRmT1_T2_T3_mT4_P12ihipStream_tbEUlT_E0_NS1_11comp_targetILNS1_3genE4ELNS1_11target_archE910ELNS1_3gpuE8ELNS1_3repE0EEENS1_30default_config_static_selectorELNS0_4arch9wavefront6targetE0EEEvSM_,comdat
	.protected	_ZN7rocprim17ROCPRIM_400000_NS6detail17trampoline_kernelINS0_14default_configENS1_22reduce_config_selectorIfEEZNS1_11reduce_implILb1ES3_N6thrust23THRUST_200600_302600_NS11hip_rocprim26transform_input_iterator_tIfNS8_17counting_iteratorIiNS8_11use_defaultESC_SC_EE11estimate_piEEPffNS8_4plusIfEEEE10hipError_tPvRmT1_T2_T3_mT4_P12ihipStream_tbEUlT_E0_NS1_11comp_targetILNS1_3genE4ELNS1_11target_archE910ELNS1_3gpuE8ELNS1_3repE0EEENS1_30default_config_static_selectorELNS0_4arch9wavefront6targetE0EEEvSM_ ; -- Begin function _ZN7rocprim17ROCPRIM_400000_NS6detail17trampoline_kernelINS0_14default_configENS1_22reduce_config_selectorIfEEZNS1_11reduce_implILb1ES3_N6thrust23THRUST_200600_302600_NS11hip_rocprim26transform_input_iterator_tIfNS8_17counting_iteratorIiNS8_11use_defaultESC_SC_EE11estimate_piEEPffNS8_4plusIfEEEE10hipError_tPvRmT1_T2_T3_mT4_P12ihipStream_tbEUlT_E0_NS1_11comp_targetILNS1_3genE4ELNS1_11target_archE910ELNS1_3gpuE8ELNS1_3repE0EEENS1_30default_config_static_selectorELNS0_4arch9wavefront6targetE0EEEvSM_
	.globl	_ZN7rocprim17ROCPRIM_400000_NS6detail17trampoline_kernelINS0_14default_configENS1_22reduce_config_selectorIfEEZNS1_11reduce_implILb1ES3_N6thrust23THRUST_200600_302600_NS11hip_rocprim26transform_input_iterator_tIfNS8_17counting_iteratorIiNS8_11use_defaultESC_SC_EE11estimate_piEEPffNS8_4plusIfEEEE10hipError_tPvRmT1_T2_T3_mT4_P12ihipStream_tbEUlT_E0_NS1_11comp_targetILNS1_3genE4ELNS1_11target_archE910ELNS1_3gpuE8ELNS1_3repE0EEENS1_30default_config_static_selectorELNS0_4arch9wavefront6targetE0EEEvSM_
	.p2align	8
	.type	_ZN7rocprim17ROCPRIM_400000_NS6detail17trampoline_kernelINS0_14default_configENS1_22reduce_config_selectorIfEEZNS1_11reduce_implILb1ES3_N6thrust23THRUST_200600_302600_NS11hip_rocprim26transform_input_iterator_tIfNS8_17counting_iteratorIiNS8_11use_defaultESC_SC_EE11estimate_piEEPffNS8_4plusIfEEEE10hipError_tPvRmT1_T2_T3_mT4_P12ihipStream_tbEUlT_E0_NS1_11comp_targetILNS1_3genE4ELNS1_11target_archE910ELNS1_3gpuE8ELNS1_3repE0EEENS1_30default_config_static_selectorELNS0_4arch9wavefront6targetE0EEEvSM_,@function
_ZN7rocprim17ROCPRIM_400000_NS6detail17trampoline_kernelINS0_14default_configENS1_22reduce_config_selectorIfEEZNS1_11reduce_implILb1ES3_N6thrust23THRUST_200600_302600_NS11hip_rocprim26transform_input_iterator_tIfNS8_17counting_iteratorIiNS8_11use_defaultESC_SC_EE11estimate_piEEPffNS8_4plusIfEEEE10hipError_tPvRmT1_T2_T3_mT4_P12ihipStream_tbEUlT_E0_NS1_11comp_targetILNS1_3genE4ELNS1_11target_archE910ELNS1_3gpuE8ELNS1_3repE0EEENS1_30default_config_static_selectorELNS0_4arch9wavefront6targetE0EEEvSM_: ; @_ZN7rocprim17ROCPRIM_400000_NS6detail17trampoline_kernelINS0_14default_configENS1_22reduce_config_selectorIfEEZNS1_11reduce_implILb1ES3_N6thrust23THRUST_200600_302600_NS11hip_rocprim26transform_input_iterator_tIfNS8_17counting_iteratorIiNS8_11use_defaultESC_SC_EE11estimate_piEEPffNS8_4plusIfEEEE10hipError_tPvRmT1_T2_T3_mT4_P12ihipStream_tbEUlT_E0_NS1_11comp_targetILNS1_3genE4ELNS1_11target_archE910ELNS1_3gpuE8ELNS1_3repE0EEENS1_30default_config_static_selectorELNS0_4arch9wavefront6targetE0EEEvSM_
; %bb.0:
	.section	.rodata,"a",@progbits
	.p2align	6, 0x0
	.amdhsa_kernel _ZN7rocprim17ROCPRIM_400000_NS6detail17trampoline_kernelINS0_14default_configENS1_22reduce_config_selectorIfEEZNS1_11reduce_implILb1ES3_N6thrust23THRUST_200600_302600_NS11hip_rocprim26transform_input_iterator_tIfNS8_17counting_iteratorIiNS8_11use_defaultESC_SC_EE11estimate_piEEPffNS8_4plusIfEEEE10hipError_tPvRmT1_T2_T3_mT4_P12ihipStream_tbEUlT_E0_NS1_11comp_targetILNS1_3genE4ELNS1_11target_archE910ELNS1_3gpuE8ELNS1_3repE0EEENS1_30default_config_static_selectorELNS0_4arch9wavefront6targetE0EEEvSM_
		.amdhsa_group_segment_fixed_size 0
		.amdhsa_private_segment_fixed_size 0
		.amdhsa_kernarg_size 56
		.amdhsa_user_sgpr_count 6
		.amdhsa_user_sgpr_private_segment_buffer 1
		.amdhsa_user_sgpr_dispatch_ptr 0
		.amdhsa_user_sgpr_queue_ptr 0
		.amdhsa_user_sgpr_kernarg_segment_ptr 1
		.amdhsa_user_sgpr_dispatch_id 0
		.amdhsa_user_sgpr_flat_scratch_init 0
		.amdhsa_user_sgpr_private_segment_size 0
		.amdhsa_wavefront_size32 1
		.amdhsa_uses_dynamic_stack 0
		.amdhsa_system_sgpr_private_segment_wavefront_offset 0
		.amdhsa_system_sgpr_workgroup_id_x 1
		.amdhsa_system_sgpr_workgroup_id_y 0
		.amdhsa_system_sgpr_workgroup_id_z 0
		.amdhsa_system_sgpr_workgroup_info 0
		.amdhsa_system_vgpr_workitem_id 0
		.amdhsa_next_free_vgpr 1
		.amdhsa_next_free_sgpr 1
		.amdhsa_reserve_vcc 0
		.amdhsa_reserve_flat_scratch 0
		.amdhsa_float_round_mode_32 0
		.amdhsa_float_round_mode_16_64 0
		.amdhsa_float_denorm_mode_32 3
		.amdhsa_float_denorm_mode_16_64 3
		.amdhsa_dx10_clamp 1
		.amdhsa_ieee_mode 1
		.amdhsa_fp16_overflow 0
		.amdhsa_workgroup_processor_mode 1
		.amdhsa_memory_ordered 1
		.amdhsa_forward_progress 1
		.amdhsa_shared_vgpr_count 0
		.amdhsa_exception_fp_ieee_invalid_op 0
		.amdhsa_exception_fp_denorm_src 0
		.amdhsa_exception_fp_ieee_div_zero 0
		.amdhsa_exception_fp_ieee_overflow 0
		.amdhsa_exception_fp_ieee_underflow 0
		.amdhsa_exception_fp_ieee_inexact 0
		.amdhsa_exception_int_div_zero 0
	.end_amdhsa_kernel
	.section	.text._ZN7rocprim17ROCPRIM_400000_NS6detail17trampoline_kernelINS0_14default_configENS1_22reduce_config_selectorIfEEZNS1_11reduce_implILb1ES3_N6thrust23THRUST_200600_302600_NS11hip_rocprim26transform_input_iterator_tIfNS8_17counting_iteratorIiNS8_11use_defaultESC_SC_EE11estimate_piEEPffNS8_4plusIfEEEE10hipError_tPvRmT1_T2_T3_mT4_P12ihipStream_tbEUlT_E0_NS1_11comp_targetILNS1_3genE4ELNS1_11target_archE910ELNS1_3gpuE8ELNS1_3repE0EEENS1_30default_config_static_selectorELNS0_4arch9wavefront6targetE0EEEvSM_,"axG",@progbits,_ZN7rocprim17ROCPRIM_400000_NS6detail17trampoline_kernelINS0_14default_configENS1_22reduce_config_selectorIfEEZNS1_11reduce_implILb1ES3_N6thrust23THRUST_200600_302600_NS11hip_rocprim26transform_input_iterator_tIfNS8_17counting_iteratorIiNS8_11use_defaultESC_SC_EE11estimate_piEEPffNS8_4plusIfEEEE10hipError_tPvRmT1_T2_T3_mT4_P12ihipStream_tbEUlT_E0_NS1_11comp_targetILNS1_3genE4ELNS1_11target_archE910ELNS1_3gpuE8ELNS1_3repE0EEENS1_30default_config_static_selectorELNS0_4arch9wavefront6targetE0EEEvSM_,comdat
.Lfunc_end20:
	.size	_ZN7rocprim17ROCPRIM_400000_NS6detail17trampoline_kernelINS0_14default_configENS1_22reduce_config_selectorIfEEZNS1_11reduce_implILb1ES3_N6thrust23THRUST_200600_302600_NS11hip_rocprim26transform_input_iterator_tIfNS8_17counting_iteratorIiNS8_11use_defaultESC_SC_EE11estimate_piEEPffNS8_4plusIfEEEE10hipError_tPvRmT1_T2_T3_mT4_P12ihipStream_tbEUlT_E0_NS1_11comp_targetILNS1_3genE4ELNS1_11target_archE910ELNS1_3gpuE8ELNS1_3repE0EEENS1_30default_config_static_selectorELNS0_4arch9wavefront6targetE0EEEvSM_, .Lfunc_end20-_ZN7rocprim17ROCPRIM_400000_NS6detail17trampoline_kernelINS0_14default_configENS1_22reduce_config_selectorIfEEZNS1_11reduce_implILb1ES3_N6thrust23THRUST_200600_302600_NS11hip_rocprim26transform_input_iterator_tIfNS8_17counting_iteratorIiNS8_11use_defaultESC_SC_EE11estimate_piEEPffNS8_4plusIfEEEE10hipError_tPvRmT1_T2_T3_mT4_P12ihipStream_tbEUlT_E0_NS1_11comp_targetILNS1_3genE4ELNS1_11target_archE910ELNS1_3gpuE8ELNS1_3repE0EEENS1_30default_config_static_selectorELNS0_4arch9wavefront6targetE0EEEvSM_
                                        ; -- End function
	.set _ZN7rocprim17ROCPRIM_400000_NS6detail17trampoline_kernelINS0_14default_configENS1_22reduce_config_selectorIfEEZNS1_11reduce_implILb1ES3_N6thrust23THRUST_200600_302600_NS11hip_rocprim26transform_input_iterator_tIfNS8_17counting_iteratorIiNS8_11use_defaultESC_SC_EE11estimate_piEEPffNS8_4plusIfEEEE10hipError_tPvRmT1_T2_T3_mT4_P12ihipStream_tbEUlT_E0_NS1_11comp_targetILNS1_3genE4ELNS1_11target_archE910ELNS1_3gpuE8ELNS1_3repE0EEENS1_30default_config_static_selectorELNS0_4arch9wavefront6targetE0EEEvSM_.num_vgpr, 0
	.set _ZN7rocprim17ROCPRIM_400000_NS6detail17trampoline_kernelINS0_14default_configENS1_22reduce_config_selectorIfEEZNS1_11reduce_implILb1ES3_N6thrust23THRUST_200600_302600_NS11hip_rocprim26transform_input_iterator_tIfNS8_17counting_iteratorIiNS8_11use_defaultESC_SC_EE11estimate_piEEPffNS8_4plusIfEEEE10hipError_tPvRmT1_T2_T3_mT4_P12ihipStream_tbEUlT_E0_NS1_11comp_targetILNS1_3genE4ELNS1_11target_archE910ELNS1_3gpuE8ELNS1_3repE0EEENS1_30default_config_static_selectorELNS0_4arch9wavefront6targetE0EEEvSM_.num_agpr, 0
	.set _ZN7rocprim17ROCPRIM_400000_NS6detail17trampoline_kernelINS0_14default_configENS1_22reduce_config_selectorIfEEZNS1_11reduce_implILb1ES3_N6thrust23THRUST_200600_302600_NS11hip_rocprim26transform_input_iterator_tIfNS8_17counting_iteratorIiNS8_11use_defaultESC_SC_EE11estimate_piEEPffNS8_4plusIfEEEE10hipError_tPvRmT1_T2_T3_mT4_P12ihipStream_tbEUlT_E0_NS1_11comp_targetILNS1_3genE4ELNS1_11target_archE910ELNS1_3gpuE8ELNS1_3repE0EEENS1_30default_config_static_selectorELNS0_4arch9wavefront6targetE0EEEvSM_.numbered_sgpr, 0
	.set _ZN7rocprim17ROCPRIM_400000_NS6detail17trampoline_kernelINS0_14default_configENS1_22reduce_config_selectorIfEEZNS1_11reduce_implILb1ES3_N6thrust23THRUST_200600_302600_NS11hip_rocprim26transform_input_iterator_tIfNS8_17counting_iteratorIiNS8_11use_defaultESC_SC_EE11estimate_piEEPffNS8_4plusIfEEEE10hipError_tPvRmT1_T2_T3_mT4_P12ihipStream_tbEUlT_E0_NS1_11comp_targetILNS1_3genE4ELNS1_11target_archE910ELNS1_3gpuE8ELNS1_3repE0EEENS1_30default_config_static_selectorELNS0_4arch9wavefront6targetE0EEEvSM_.num_named_barrier, 0
	.set _ZN7rocprim17ROCPRIM_400000_NS6detail17trampoline_kernelINS0_14default_configENS1_22reduce_config_selectorIfEEZNS1_11reduce_implILb1ES3_N6thrust23THRUST_200600_302600_NS11hip_rocprim26transform_input_iterator_tIfNS8_17counting_iteratorIiNS8_11use_defaultESC_SC_EE11estimate_piEEPffNS8_4plusIfEEEE10hipError_tPvRmT1_T2_T3_mT4_P12ihipStream_tbEUlT_E0_NS1_11comp_targetILNS1_3genE4ELNS1_11target_archE910ELNS1_3gpuE8ELNS1_3repE0EEENS1_30default_config_static_selectorELNS0_4arch9wavefront6targetE0EEEvSM_.private_seg_size, 0
	.set _ZN7rocprim17ROCPRIM_400000_NS6detail17trampoline_kernelINS0_14default_configENS1_22reduce_config_selectorIfEEZNS1_11reduce_implILb1ES3_N6thrust23THRUST_200600_302600_NS11hip_rocprim26transform_input_iterator_tIfNS8_17counting_iteratorIiNS8_11use_defaultESC_SC_EE11estimate_piEEPffNS8_4plusIfEEEE10hipError_tPvRmT1_T2_T3_mT4_P12ihipStream_tbEUlT_E0_NS1_11comp_targetILNS1_3genE4ELNS1_11target_archE910ELNS1_3gpuE8ELNS1_3repE0EEENS1_30default_config_static_selectorELNS0_4arch9wavefront6targetE0EEEvSM_.uses_vcc, 0
	.set _ZN7rocprim17ROCPRIM_400000_NS6detail17trampoline_kernelINS0_14default_configENS1_22reduce_config_selectorIfEEZNS1_11reduce_implILb1ES3_N6thrust23THRUST_200600_302600_NS11hip_rocprim26transform_input_iterator_tIfNS8_17counting_iteratorIiNS8_11use_defaultESC_SC_EE11estimate_piEEPffNS8_4plusIfEEEE10hipError_tPvRmT1_T2_T3_mT4_P12ihipStream_tbEUlT_E0_NS1_11comp_targetILNS1_3genE4ELNS1_11target_archE910ELNS1_3gpuE8ELNS1_3repE0EEENS1_30default_config_static_selectorELNS0_4arch9wavefront6targetE0EEEvSM_.uses_flat_scratch, 0
	.set _ZN7rocprim17ROCPRIM_400000_NS6detail17trampoline_kernelINS0_14default_configENS1_22reduce_config_selectorIfEEZNS1_11reduce_implILb1ES3_N6thrust23THRUST_200600_302600_NS11hip_rocprim26transform_input_iterator_tIfNS8_17counting_iteratorIiNS8_11use_defaultESC_SC_EE11estimate_piEEPffNS8_4plusIfEEEE10hipError_tPvRmT1_T2_T3_mT4_P12ihipStream_tbEUlT_E0_NS1_11comp_targetILNS1_3genE4ELNS1_11target_archE910ELNS1_3gpuE8ELNS1_3repE0EEENS1_30default_config_static_selectorELNS0_4arch9wavefront6targetE0EEEvSM_.has_dyn_sized_stack, 0
	.set _ZN7rocprim17ROCPRIM_400000_NS6detail17trampoline_kernelINS0_14default_configENS1_22reduce_config_selectorIfEEZNS1_11reduce_implILb1ES3_N6thrust23THRUST_200600_302600_NS11hip_rocprim26transform_input_iterator_tIfNS8_17counting_iteratorIiNS8_11use_defaultESC_SC_EE11estimate_piEEPffNS8_4plusIfEEEE10hipError_tPvRmT1_T2_T3_mT4_P12ihipStream_tbEUlT_E0_NS1_11comp_targetILNS1_3genE4ELNS1_11target_archE910ELNS1_3gpuE8ELNS1_3repE0EEENS1_30default_config_static_selectorELNS0_4arch9wavefront6targetE0EEEvSM_.has_recursion, 0
	.set _ZN7rocprim17ROCPRIM_400000_NS6detail17trampoline_kernelINS0_14default_configENS1_22reduce_config_selectorIfEEZNS1_11reduce_implILb1ES3_N6thrust23THRUST_200600_302600_NS11hip_rocprim26transform_input_iterator_tIfNS8_17counting_iteratorIiNS8_11use_defaultESC_SC_EE11estimate_piEEPffNS8_4plusIfEEEE10hipError_tPvRmT1_T2_T3_mT4_P12ihipStream_tbEUlT_E0_NS1_11comp_targetILNS1_3genE4ELNS1_11target_archE910ELNS1_3gpuE8ELNS1_3repE0EEENS1_30default_config_static_selectorELNS0_4arch9wavefront6targetE0EEEvSM_.has_indirect_call, 0
	.section	.AMDGPU.csdata,"",@progbits
; Kernel info:
; codeLenInByte = 0
; TotalNumSgprs: 0
; NumVgprs: 0
; ScratchSize: 0
; MemoryBound: 0
; FloatMode: 240
; IeeeMode: 1
; LDSByteSize: 0 bytes/workgroup (compile time only)
; SGPRBlocks: 0
; VGPRBlocks: 0
; NumSGPRsForWavesPerEU: 1
; NumVGPRsForWavesPerEU: 1
; Occupancy: 16
; WaveLimiterHint : 0
; COMPUTE_PGM_RSRC2:SCRATCH_EN: 0
; COMPUTE_PGM_RSRC2:USER_SGPR: 6
; COMPUTE_PGM_RSRC2:TRAP_HANDLER: 0
; COMPUTE_PGM_RSRC2:TGID_X_EN: 1
; COMPUTE_PGM_RSRC2:TGID_Y_EN: 0
; COMPUTE_PGM_RSRC2:TGID_Z_EN: 0
; COMPUTE_PGM_RSRC2:TIDIG_COMP_CNT: 0
	.section	.text._ZN7rocprim17ROCPRIM_400000_NS6detail17trampoline_kernelINS0_14default_configENS1_22reduce_config_selectorIfEEZNS1_11reduce_implILb1ES3_N6thrust23THRUST_200600_302600_NS11hip_rocprim26transform_input_iterator_tIfNS8_17counting_iteratorIiNS8_11use_defaultESC_SC_EE11estimate_piEEPffNS8_4plusIfEEEE10hipError_tPvRmT1_T2_T3_mT4_P12ihipStream_tbEUlT_E0_NS1_11comp_targetILNS1_3genE3ELNS1_11target_archE908ELNS1_3gpuE7ELNS1_3repE0EEENS1_30default_config_static_selectorELNS0_4arch9wavefront6targetE0EEEvSM_,"axG",@progbits,_ZN7rocprim17ROCPRIM_400000_NS6detail17trampoline_kernelINS0_14default_configENS1_22reduce_config_selectorIfEEZNS1_11reduce_implILb1ES3_N6thrust23THRUST_200600_302600_NS11hip_rocprim26transform_input_iterator_tIfNS8_17counting_iteratorIiNS8_11use_defaultESC_SC_EE11estimate_piEEPffNS8_4plusIfEEEE10hipError_tPvRmT1_T2_T3_mT4_P12ihipStream_tbEUlT_E0_NS1_11comp_targetILNS1_3genE3ELNS1_11target_archE908ELNS1_3gpuE7ELNS1_3repE0EEENS1_30default_config_static_selectorELNS0_4arch9wavefront6targetE0EEEvSM_,comdat
	.protected	_ZN7rocprim17ROCPRIM_400000_NS6detail17trampoline_kernelINS0_14default_configENS1_22reduce_config_selectorIfEEZNS1_11reduce_implILb1ES3_N6thrust23THRUST_200600_302600_NS11hip_rocprim26transform_input_iterator_tIfNS8_17counting_iteratorIiNS8_11use_defaultESC_SC_EE11estimate_piEEPffNS8_4plusIfEEEE10hipError_tPvRmT1_T2_T3_mT4_P12ihipStream_tbEUlT_E0_NS1_11comp_targetILNS1_3genE3ELNS1_11target_archE908ELNS1_3gpuE7ELNS1_3repE0EEENS1_30default_config_static_selectorELNS0_4arch9wavefront6targetE0EEEvSM_ ; -- Begin function _ZN7rocprim17ROCPRIM_400000_NS6detail17trampoline_kernelINS0_14default_configENS1_22reduce_config_selectorIfEEZNS1_11reduce_implILb1ES3_N6thrust23THRUST_200600_302600_NS11hip_rocprim26transform_input_iterator_tIfNS8_17counting_iteratorIiNS8_11use_defaultESC_SC_EE11estimate_piEEPffNS8_4plusIfEEEE10hipError_tPvRmT1_T2_T3_mT4_P12ihipStream_tbEUlT_E0_NS1_11comp_targetILNS1_3genE3ELNS1_11target_archE908ELNS1_3gpuE7ELNS1_3repE0EEENS1_30default_config_static_selectorELNS0_4arch9wavefront6targetE0EEEvSM_
	.globl	_ZN7rocprim17ROCPRIM_400000_NS6detail17trampoline_kernelINS0_14default_configENS1_22reduce_config_selectorIfEEZNS1_11reduce_implILb1ES3_N6thrust23THRUST_200600_302600_NS11hip_rocprim26transform_input_iterator_tIfNS8_17counting_iteratorIiNS8_11use_defaultESC_SC_EE11estimate_piEEPffNS8_4plusIfEEEE10hipError_tPvRmT1_T2_T3_mT4_P12ihipStream_tbEUlT_E0_NS1_11comp_targetILNS1_3genE3ELNS1_11target_archE908ELNS1_3gpuE7ELNS1_3repE0EEENS1_30default_config_static_selectorELNS0_4arch9wavefront6targetE0EEEvSM_
	.p2align	8
	.type	_ZN7rocprim17ROCPRIM_400000_NS6detail17trampoline_kernelINS0_14default_configENS1_22reduce_config_selectorIfEEZNS1_11reduce_implILb1ES3_N6thrust23THRUST_200600_302600_NS11hip_rocprim26transform_input_iterator_tIfNS8_17counting_iteratorIiNS8_11use_defaultESC_SC_EE11estimate_piEEPffNS8_4plusIfEEEE10hipError_tPvRmT1_T2_T3_mT4_P12ihipStream_tbEUlT_E0_NS1_11comp_targetILNS1_3genE3ELNS1_11target_archE908ELNS1_3gpuE7ELNS1_3repE0EEENS1_30default_config_static_selectorELNS0_4arch9wavefront6targetE0EEEvSM_,@function
_ZN7rocprim17ROCPRIM_400000_NS6detail17trampoline_kernelINS0_14default_configENS1_22reduce_config_selectorIfEEZNS1_11reduce_implILb1ES3_N6thrust23THRUST_200600_302600_NS11hip_rocprim26transform_input_iterator_tIfNS8_17counting_iteratorIiNS8_11use_defaultESC_SC_EE11estimate_piEEPffNS8_4plusIfEEEE10hipError_tPvRmT1_T2_T3_mT4_P12ihipStream_tbEUlT_E0_NS1_11comp_targetILNS1_3genE3ELNS1_11target_archE908ELNS1_3gpuE7ELNS1_3repE0EEENS1_30default_config_static_selectorELNS0_4arch9wavefront6targetE0EEEvSM_: ; @_ZN7rocprim17ROCPRIM_400000_NS6detail17trampoline_kernelINS0_14default_configENS1_22reduce_config_selectorIfEEZNS1_11reduce_implILb1ES3_N6thrust23THRUST_200600_302600_NS11hip_rocprim26transform_input_iterator_tIfNS8_17counting_iteratorIiNS8_11use_defaultESC_SC_EE11estimate_piEEPffNS8_4plusIfEEEE10hipError_tPvRmT1_T2_T3_mT4_P12ihipStream_tbEUlT_E0_NS1_11comp_targetILNS1_3genE3ELNS1_11target_archE908ELNS1_3gpuE7ELNS1_3repE0EEENS1_30default_config_static_selectorELNS0_4arch9wavefront6targetE0EEEvSM_
; %bb.0:
	.section	.rodata,"a",@progbits
	.p2align	6, 0x0
	.amdhsa_kernel _ZN7rocprim17ROCPRIM_400000_NS6detail17trampoline_kernelINS0_14default_configENS1_22reduce_config_selectorIfEEZNS1_11reduce_implILb1ES3_N6thrust23THRUST_200600_302600_NS11hip_rocprim26transform_input_iterator_tIfNS8_17counting_iteratorIiNS8_11use_defaultESC_SC_EE11estimate_piEEPffNS8_4plusIfEEEE10hipError_tPvRmT1_T2_T3_mT4_P12ihipStream_tbEUlT_E0_NS1_11comp_targetILNS1_3genE3ELNS1_11target_archE908ELNS1_3gpuE7ELNS1_3repE0EEENS1_30default_config_static_selectorELNS0_4arch9wavefront6targetE0EEEvSM_
		.amdhsa_group_segment_fixed_size 0
		.amdhsa_private_segment_fixed_size 0
		.amdhsa_kernarg_size 56
		.amdhsa_user_sgpr_count 6
		.amdhsa_user_sgpr_private_segment_buffer 1
		.amdhsa_user_sgpr_dispatch_ptr 0
		.amdhsa_user_sgpr_queue_ptr 0
		.amdhsa_user_sgpr_kernarg_segment_ptr 1
		.amdhsa_user_sgpr_dispatch_id 0
		.amdhsa_user_sgpr_flat_scratch_init 0
		.amdhsa_user_sgpr_private_segment_size 0
		.amdhsa_wavefront_size32 1
		.amdhsa_uses_dynamic_stack 0
		.amdhsa_system_sgpr_private_segment_wavefront_offset 0
		.amdhsa_system_sgpr_workgroup_id_x 1
		.amdhsa_system_sgpr_workgroup_id_y 0
		.amdhsa_system_sgpr_workgroup_id_z 0
		.amdhsa_system_sgpr_workgroup_info 0
		.amdhsa_system_vgpr_workitem_id 0
		.amdhsa_next_free_vgpr 1
		.amdhsa_next_free_sgpr 1
		.amdhsa_reserve_vcc 0
		.amdhsa_reserve_flat_scratch 0
		.amdhsa_float_round_mode_32 0
		.amdhsa_float_round_mode_16_64 0
		.amdhsa_float_denorm_mode_32 3
		.amdhsa_float_denorm_mode_16_64 3
		.amdhsa_dx10_clamp 1
		.amdhsa_ieee_mode 1
		.amdhsa_fp16_overflow 0
		.amdhsa_workgroup_processor_mode 1
		.amdhsa_memory_ordered 1
		.amdhsa_forward_progress 1
		.amdhsa_shared_vgpr_count 0
		.amdhsa_exception_fp_ieee_invalid_op 0
		.amdhsa_exception_fp_denorm_src 0
		.amdhsa_exception_fp_ieee_div_zero 0
		.amdhsa_exception_fp_ieee_overflow 0
		.amdhsa_exception_fp_ieee_underflow 0
		.amdhsa_exception_fp_ieee_inexact 0
		.amdhsa_exception_int_div_zero 0
	.end_amdhsa_kernel
	.section	.text._ZN7rocprim17ROCPRIM_400000_NS6detail17trampoline_kernelINS0_14default_configENS1_22reduce_config_selectorIfEEZNS1_11reduce_implILb1ES3_N6thrust23THRUST_200600_302600_NS11hip_rocprim26transform_input_iterator_tIfNS8_17counting_iteratorIiNS8_11use_defaultESC_SC_EE11estimate_piEEPffNS8_4plusIfEEEE10hipError_tPvRmT1_T2_T3_mT4_P12ihipStream_tbEUlT_E0_NS1_11comp_targetILNS1_3genE3ELNS1_11target_archE908ELNS1_3gpuE7ELNS1_3repE0EEENS1_30default_config_static_selectorELNS0_4arch9wavefront6targetE0EEEvSM_,"axG",@progbits,_ZN7rocprim17ROCPRIM_400000_NS6detail17trampoline_kernelINS0_14default_configENS1_22reduce_config_selectorIfEEZNS1_11reduce_implILb1ES3_N6thrust23THRUST_200600_302600_NS11hip_rocprim26transform_input_iterator_tIfNS8_17counting_iteratorIiNS8_11use_defaultESC_SC_EE11estimate_piEEPffNS8_4plusIfEEEE10hipError_tPvRmT1_T2_T3_mT4_P12ihipStream_tbEUlT_E0_NS1_11comp_targetILNS1_3genE3ELNS1_11target_archE908ELNS1_3gpuE7ELNS1_3repE0EEENS1_30default_config_static_selectorELNS0_4arch9wavefront6targetE0EEEvSM_,comdat
.Lfunc_end21:
	.size	_ZN7rocprim17ROCPRIM_400000_NS6detail17trampoline_kernelINS0_14default_configENS1_22reduce_config_selectorIfEEZNS1_11reduce_implILb1ES3_N6thrust23THRUST_200600_302600_NS11hip_rocprim26transform_input_iterator_tIfNS8_17counting_iteratorIiNS8_11use_defaultESC_SC_EE11estimate_piEEPffNS8_4plusIfEEEE10hipError_tPvRmT1_T2_T3_mT4_P12ihipStream_tbEUlT_E0_NS1_11comp_targetILNS1_3genE3ELNS1_11target_archE908ELNS1_3gpuE7ELNS1_3repE0EEENS1_30default_config_static_selectorELNS0_4arch9wavefront6targetE0EEEvSM_, .Lfunc_end21-_ZN7rocprim17ROCPRIM_400000_NS6detail17trampoline_kernelINS0_14default_configENS1_22reduce_config_selectorIfEEZNS1_11reduce_implILb1ES3_N6thrust23THRUST_200600_302600_NS11hip_rocprim26transform_input_iterator_tIfNS8_17counting_iteratorIiNS8_11use_defaultESC_SC_EE11estimate_piEEPffNS8_4plusIfEEEE10hipError_tPvRmT1_T2_T3_mT4_P12ihipStream_tbEUlT_E0_NS1_11comp_targetILNS1_3genE3ELNS1_11target_archE908ELNS1_3gpuE7ELNS1_3repE0EEENS1_30default_config_static_selectorELNS0_4arch9wavefront6targetE0EEEvSM_
                                        ; -- End function
	.set _ZN7rocprim17ROCPRIM_400000_NS6detail17trampoline_kernelINS0_14default_configENS1_22reduce_config_selectorIfEEZNS1_11reduce_implILb1ES3_N6thrust23THRUST_200600_302600_NS11hip_rocprim26transform_input_iterator_tIfNS8_17counting_iteratorIiNS8_11use_defaultESC_SC_EE11estimate_piEEPffNS8_4plusIfEEEE10hipError_tPvRmT1_T2_T3_mT4_P12ihipStream_tbEUlT_E0_NS1_11comp_targetILNS1_3genE3ELNS1_11target_archE908ELNS1_3gpuE7ELNS1_3repE0EEENS1_30default_config_static_selectorELNS0_4arch9wavefront6targetE0EEEvSM_.num_vgpr, 0
	.set _ZN7rocprim17ROCPRIM_400000_NS6detail17trampoline_kernelINS0_14default_configENS1_22reduce_config_selectorIfEEZNS1_11reduce_implILb1ES3_N6thrust23THRUST_200600_302600_NS11hip_rocprim26transform_input_iterator_tIfNS8_17counting_iteratorIiNS8_11use_defaultESC_SC_EE11estimate_piEEPffNS8_4plusIfEEEE10hipError_tPvRmT1_T2_T3_mT4_P12ihipStream_tbEUlT_E0_NS1_11comp_targetILNS1_3genE3ELNS1_11target_archE908ELNS1_3gpuE7ELNS1_3repE0EEENS1_30default_config_static_selectorELNS0_4arch9wavefront6targetE0EEEvSM_.num_agpr, 0
	.set _ZN7rocprim17ROCPRIM_400000_NS6detail17trampoline_kernelINS0_14default_configENS1_22reduce_config_selectorIfEEZNS1_11reduce_implILb1ES3_N6thrust23THRUST_200600_302600_NS11hip_rocprim26transform_input_iterator_tIfNS8_17counting_iteratorIiNS8_11use_defaultESC_SC_EE11estimate_piEEPffNS8_4plusIfEEEE10hipError_tPvRmT1_T2_T3_mT4_P12ihipStream_tbEUlT_E0_NS1_11comp_targetILNS1_3genE3ELNS1_11target_archE908ELNS1_3gpuE7ELNS1_3repE0EEENS1_30default_config_static_selectorELNS0_4arch9wavefront6targetE0EEEvSM_.numbered_sgpr, 0
	.set _ZN7rocprim17ROCPRIM_400000_NS6detail17trampoline_kernelINS0_14default_configENS1_22reduce_config_selectorIfEEZNS1_11reduce_implILb1ES3_N6thrust23THRUST_200600_302600_NS11hip_rocprim26transform_input_iterator_tIfNS8_17counting_iteratorIiNS8_11use_defaultESC_SC_EE11estimate_piEEPffNS8_4plusIfEEEE10hipError_tPvRmT1_T2_T3_mT4_P12ihipStream_tbEUlT_E0_NS1_11comp_targetILNS1_3genE3ELNS1_11target_archE908ELNS1_3gpuE7ELNS1_3repE0EEENS1_30default_config_static_selectorELNS0_4arch9wavefront6targetE0EEEvSM_.num_named_barrier, 0
	.set _ZN7rocprim17ROCPRIM_400000_NS6detail17trampoline_kernelINS0_14default_configENS1_22reduce_config_selectorIfEEZNS1_11reduce_implILb1ES3_N6thrust23THRUST_200600_302600_NS11hip_rocprim26transform_input_iterator_tIfNS8_17counting_iteratorIiNS8_11use_defaultESC_SC_EE11estimate_piEEPffNS8_4plusIfEEEE10hipError_tPvRmT1_T2_T3_mT4_P12ihipStream_tbEUlT_E0_NS1_11comp_targetILNS1_3genE3ELNS1_11target_archE908ELNS1_3gpuE7ELNS1_3repE0EEENS1_30default_config_static_selectorELNS0_4arch9wavefront6targetE0EEEvSM_.private_seg_size, 0
	.set _ZN7rocprim17ROCPRIM_400000_NS6detail17trampoline_kernelINS0_14default_configENS1_22reduce_config_selectorIfEEZNS1_11reduce_implILb1ES3_N6thrust23THRUST_200600_302600_NS11hip_rocprim26transform_input_iterator_tIfNS8_17counting_iteratorIiNS8_11use_defaultESC_SC_EE11estimate_piEEPffNS8_4plusIfEEEE10hipError_tPvRmT1_T2_T3_mT4_P12ihipStream_tbEUlT_E0_NS1_11comp_targetILNS1_3genE3ELNS1_11target_archE908ELNS1_3gpuE7ELNS1_3repE0EEENS1_30default_config_static_selectorELNS0_4arch9wavefront6targetE0EEEvSM_.uses_vcc, 0
	.set _ZN7rocprim17ROCPRIM_400000_NS6detail17trampoline_kernelINS0_14default_configENS1_22reduce_config_selectorIfEEZNS1_11reduce_implILb1ES3_N6thrust23THRUST_200600_302600_NS11hip_rocprim26transform_input_iterator_tIfNS8_17counting_iteratorIiNS8_11use_defaultESC_SC_EE11estimate_piEEPffNS8_4plusIfEEEE10hipError_tPvRmT1_T2_T3_mT4_P12ihipStream_tbEUlT_E0_NS1_11comp_targetILNS1_3genE3ELNS1_11target_archE908ELNS1_3gpuE7ELNS1_3repE0EEENS1_30default_config_static_selectorELNS0_4arch9wavefront6targetE0EEEvSM_.uses_flat_scratch, 0
	.set _ZN7rocprim17ROCPRIM_400000_NS6detail17trampoline_kernelINS0_14default_configENS1_22reduce_config_selectorIfEEZNS1_11reduce_implILb1ES3_N6thrust23THRUST_200600_302600_NS11hip_rocprim26transform_input_iterator_tIfNS8_17counting_iteratorIiNS8_11use_defaultESC_SC_EE11estimate_piEEPffNS8_4plusIfEEEE10hipError_tPvRmT1_T2_T3_mT4_P12ihipStream_tbEUlT_E0_NS1_11comp_targetILNS1_3genE3ELNS1_11target_archE908ELNS1_3gpuE7ELNS1_3repE0EEENS1_30default_config_static_selectorELNS0_4arch9wavefront6targetE0EEEvSM_.has_dyn_sized_stack, 0
	.set _ZN7rocprim17ROCPRIM_400000_NS6detail17trampoline_kernelINS0_14default_configENS1_22reduce_config_selectorIfEEZNS1_11reduce_implILb1ES3_N6thrust23THRUST_200600_302600_NS11hip_rocprim26transform_input_iterator_tIfNS8_17counting_iteratorIiNS8_11use_defaultESC_SC_EE11estimate_piEEPffNS8_4plusIfEEEE10hipError_tPvRmT1_T2_T3_mT4_P12ihipStream_tbEUlT_E0_NS1_11comp_targetILNS1_3genE3ELNS1_11target_archE908ELNS1_3gpuE7ELNS1_3repE0EEENS1_30default_config_static_selectorELNS0_4arch9wavefront6targetE0EEEvSM_.has_recursion, 0
	.set _ZN7rocprim17ROCPRIM_400000_NS6detail17trampoline_kernelINS0_14default_configENS1_22reduce_config_selectorIfEEZNS1_11reduce_implILb1ES3_N6thrust23THRUST_200600_302600_NS11hip_rocprim26transform_input_iterator_tIfNS8_17counting_iteratorIiNS8_11use_defaultESC_SC_EE11estimate_piEEPffNS8_4plusIfEEEE10hipError_tPvRmT1_T2_T3_mT4_P12ihipStream_tbEUlT_E0_NS1_11comp_targetILNS1_3genE3ELNS1_11target_archE908ELNS1_3gpuE7ELNS1_3repE0EEENS1_30default_config_static_selectorELNS0_4arch9wavefront6targetE0EEEvSM_.has_indirect_call, 0
	.section	.AMDGPU.csdata,"",@progbits
; Kernel info:
; codeLenInByte = 0
; TotalNumSgprs: 0
; NumVgprs: 0
; ScratchSize: 0
; MemoryBound: 0
; FloatMode: 240
; IeeeMode: 1
; LDSByteSize: 0 bytes/workgroup (compile time only)
; SGPRBlocks: 0
; VGPRBlocks: 0
; NumSGPRsForWavesPerEU: 1
; NumVGPRsForWavesPerEU: 1
; Occupancy: 16
; WaveLimiterHint : 0
; COMPUTE_PGM_RSRC2:SCRATCH_EN: 0
; COMPUTE_PGM_RSRC2:USER_SGPR: 6
; COMPUTE_PGM_RSRC2:TRAP_HANDLER: 0
; COMPUTE_PGM_RSRC2:TGID_X_EN: 1
; COMPUTE_PGM_RSRC2:TGID_Y_EN: 0
; COMPUTE_PGM_RSRC2:TGID_Z_EN: 0
; COMPUTE_PGM_RSRC2:TIDIG_COMP_CNT: 0
	.section	.text._ZN7rocprim17ROCPRIM_400000_NS6detail17trampoline_kernelINS0_14default_configENS1_22reduce_config_selectorIfEEZNS1_11reduce_implILb1ES3_N6thrust23THRUST_200600_302600_NS11hip_rocprim26transform_input_iterator_tIfNS8_17counting_iteratorIiNS8_11use_defaultESC_SC_EE11estimate_piEEPffNS8_4plusIfEEEE10hipError_tPvRmT1_T2_T3_mT4_P12ihipStream_tbEUlT_E0_NS1_11comp_targetILNS1_3genE2ELNS1_11target_archE906ELNS1_3gpuE6ELNS1_3repE0EEENS1_30default_config_static_selectorELNS0_4arch9wavefront6targetE0EEEvSM_,"axG",@progbits,_ZN7rocprim17ROCPRIM_400000_NS6detail17trampoline_kernelINS0_14default_configENS1_22reduce_config_selectorIfEEZNS1_11reduce_implILb1ES3_N6thrust23THRUST_200600_302600_NS11hip_rocprim26transform_input_iterator_tIfNS8_17counting_iteratorIiNS8_11use_defaultESC_SC_EE11estimate_piEEPffNS8_4plusIfEEEE10hipError_tPvRmT1_T2_T3_mT4_P12ihipStream_tbEUlT_E0_NS1_11comp_targetILNS1_3genE2ELNS1_11target_archE906ELNS1_3gpuE6ELNS1_3repE0EEENS1_30default_config_static_selectorELNS0_4arch9wavefront6targetE0EEEvSM_,comdat
	.protected	_ZN7rocprim17ROCPRIM_400000_NS6detail17trampoline_kernelINS0_14default_configENS1_22reduce_config_selectorIfEEZNS1_11reduce_implILb1ES3_N6thrust23THRUST_200600_302600_NS11hip_rocprim26transform_input_iterator_tIfNS8_17counting_iteratorIiNS8_11use_defaultESC_SC_EE11estimate_piEEPffNS8_4plusIfEEEE10hipError_tPvRmT1_T2_T3_mT4_P12ihipStream_tbEUlT_E0_NS1_11comp_targetILNS1_3genE2ELNS1_11target_archE906ELNS1_3gpuE6ELNS1_3repE0EEENS1_30default_config_static_selectorELNS0_4arch9wavefront6targetE0EEEvSM_ ; -- Begin function _ZN7rocprim17ROCPRIM_400000_NS6detail17trampoline_kernelINS0_14default_configENS1_22reduce_config_selectorIfEEZNS1_11reduce_implILb1ES3_N6thrust23THRUST_200600_302600_NS11hip_rocprim26transform_input_iterator_tIfNS8_17counting_iteratorIiNS8_11use_defaultESC_SC_EE11estimate_piEEPffNS8_4plusIfEEEE10hipError_tPvRmT1_T2_T3_mT4_P12ihipStream_tbEUlT_E0_NS1_11comp_targetILNS1_3genE2ELNS1_11target_archE906ELNS1_3gpuE6ELNS1_3repE0EEENS1_30default_config_static_selectorELNS0_4arch9wavefront6targetE0EEEvSM_
	.globl	_ZN7rocprim17ROCPRIM_400000_NS6detail17trampoline_kernelINS0_14default_configENS1_22reduce_config_selectorIfEEZNS1_11reduce_implILb1ES3_N6thrust23THRUST_200600_302600_NS11hip_rocprim26transform_input_iterator_tIfNS8_17counting_iteratorIiNS8_11use_defaultESC_SC_EE11estimate_piEEPffNS8_4plusIfEEEE10hipError_tPvRmT1_T2_T3_mT4_P12ihipStream_tbEUlT_E0_NS1_11comp_targetILNS1_3genE2ELNS1_11target_archE906ELNS1_3gpuE6ELNS1_3repE0EEENS1_30default_config_static_selectorELNS0_4arch9wavefront6targetE0EEEvSM_
	.p2align	8
	.type	_ZN7rocprim17ROCPRIM_400000_NS6detail17trampoline_kernelINS0_14default_configENS1_22reduce_config_selectorIfEEZNS1_11reduce_implILb1ES3_N6thrust23THRUST_200600_302600_NS11hip_rocprim26transform_input_iterator_tIfNS8_17counting_iteratorIiNS8_11use_defaultESC_SC_EE11estimate_piEEPffNS8_4plusIfEEEE10hipError_tPvRmT1_T2_T3_mT4_P12ihipStream_tbEUlT_E0_NS1_11comp_targetILNS1_3genE2ELNS1_11target_archE906ELNS1_3gpuE6ELNS1_3repE0EEENS1_30default_config_static_selectorELNS0_4arch9wavefront6targetE0EEEvSM_,@function
_ZN7rocprim17ROCPRIM_400000_NS6detail17trampoline_kernelINS0_14default_configENS1_22reduce_config_selectorIfEEZNS1_11reduce_implILb1ES3_N6thrust23THRUST_200600_302600_NS11hip_rocprim26transform_input_iterator_tIfNS8_17counting_iteratorIiNS8_11use_defaultESC_SC_EE11estimate_piEEPffNS8_4plusIfEEEE10hipError_tPvRmT1_T2_T3_mT4_P12ihipStream_tbEUlT_E0_NS1_11comp_targetILNS1_3genE2ELNS1_11target_archE906ELNS1_3gpuE6ELNS1_3repE0EEENS1_30default_config_static_selectorELNS0_4arch9wavefront6targetE0EEEvSM_: ; @_ZN7rocprim17ROCPRIM_400000_NS6detail17trampoline_kernelINS0_14default_configENS1_22reduce_config_selectorIfEEZNS1_11reduce_implILb1ES3_N6thrust23THRUST_200600_302600_NS11hip_rocprim26transform_input_iterator_tIfNS8_17counting_iteratorIiNS8_11use_defaultESC_SC_EE11estimate_piEEPffNS8_4plusIfEEEE10hipError_tPvRmT1_T2_T3_mT4_P12ihipStream_tbEUlT_E0_NS1_11comp_targetILNS1_3genE2ELNS1_11target_archE906ELNS1_3gpuE6ELNS1_3repE0EEENS1_30default_config_static_selectorELNS0_4arch9wavefront6targetE0EEEvSM_
; %bb.0:
	.section	.rodata,"a",@progbits
	.p2align	6, 0x0
	.amdhsa_kernel _ZN7rocprim17ROCPRIM_400000_NS6detail17trampoline_kernelINS0_14default_configENS1_22reduce_config_selectorIfEEZNS1_11reduce_implILb1ES3_N6thrust23THRUST_200600_302600_NS11hip_rocprim26transform_input_iterator_tIfNS8_17counting_iteratorIiNS8_11use_defaultESC_SC_EE11estimate_piEEPffNS8_4plusIfEEEE10hipError_tPvRmT1_T2_T3_mT4_P12ihipStream_tbEUlT_E0_NS1_11comp_targetILNS1_3genE2ELNS1_11target_archE906ELNS1_3gpuE6ELNS1_3repE0EEENS1_30default_config_static_selectorELNS0_4arch9wavefront6targetE0EEEvSM_
		.amdhsa_group_segment_fixed_size 0
		.amdhsa_private_segment_fixed_size 0
		.amdhsa_kernarg_size 56
		.amdhsa_user_sgpr_count 6
		.amdhsa_user_sgpr_private_segment_buffer 1
		.amdhsa_user_sgpr_dispatch_ptr 0
		.amdhsa_user_sgpr_queue_ptr 0
		.amdhsa_user_sgpr_kernarg_segment_ptr 1
		.amdhsa_user_sgpr_dispatch_id 0
		.amdhsa_user_sgpr_flat_scratch_init 0
		.amdhsa_user_sgpr_private_segment_size 0
		.amdhsa_wavefront_size32 1
		.amdhsa_uses_dynamic_stack 0
		.amdhsa_system_sgpr_private_segment_wavefront_offset 0
		.amdhsa_system_sgpr_workgroup_id_x 1
		.amdhsa_system_sgpr_workgroup_id_y 0
		.amdhsa_system_sgpr_workgroup_id_z 0
		.amdhsa_system_sgpr_workgroup_info 0
		.amdhsa_system_vgpr_workitem_id 0
		.amdhsa_next_free_vgpr 1
		.amdhsa_next_free_sgpr 1
		.amdhsa_reserve_vcc 0
		.amdhsa_reserve_flat_scratch 0
		.amdhsa_float_round_mode_32 0
		.amdhsa_float_round_mode_16_64 0
		.amdhsa_float_denorm_mode_32 3
		.amdhsa_float_denorm_mode_16_64 3
		.amdhsa_dx10_clamp 1
		.amdhsa_ieee_mode 1
		.amdhsa_fp16_overflow 0
		.amdhsa_workgroup_processor_mode 1
		.amdhsa_memory_ordered 1
		.amdhsa_forward_progress 1
		.amdhsa_shared_vgpr_count 0
		.amdhsa_exception_fp_ieee_invalid_op 0
		.amdhsa_exception_fp_denorm_src 0
		.amdhsa_exception_fp_ieee_div_zero 0
		.amdhsa_exception_fp_ieee_overflow 0
		.amdhsa_exception_fp_ieee_underflow 0
		.amdhsa_exception_fp_ieee_inexact 0
		.amdhsa_exception_int_div_zero 0
	.end_amdhsa_kernel
	.section	.text._ZN7rocprim17ROCPRIM_400000_NS6detail17trampoline_kernelINS0_14default_configENS1_22reduce_config_selectorIfEEZNS1_11reduce_implILb1ES3_N6thrust23THRUST_200600_302600_NS11hip_rocprim26transform_input_iterator_tIfNS8_17counting_iteratorIiNS8_11use_defaultESC_SC_EE11estimate_piEEPffNS8_4plusIfEEEE10hipError_tPvRmT1_T2_T3_mT4_P12ihipStream_tbEUlT_E0_NS1_11comp_targetILNS1_3genE2ELNS1_11target_archE906ELNS1_3gpuE6ELNS1_3repE0EEENS1_30default_config_static_selectorELNS0_4arch9wavefront6targetE0EEEvSM_,"axG",@progbits,_ZN7rocprim17ROCPRIM_400000_NS6detail17trampoline_kernelINS0_14default_configENS1_22reduce_config_selectorIfEEZNS1_11reduce_implILb1ES3_N6thrust23THRUST_200600_302600_NS11hip_rocprim26transform_input_iterator_tIfNS8_17counting_iteratorIiNS8_11use_defaultESC_SC_EE11estimate_piEEPffNS8_4plusIfEEEE10hipError_tPvRmT1_T2_T3_mT4_P12ihipStream_tbEUlT_E0_NS1_11comp_targetILNS1_3genE2ELNS1_11target_archE906ELNS1_3gpuE6ELNS1_3repE0EEENS1_30default_config_static_selectorELNS0_4arch9wavefront6targetE0EEEvSM_,comdat
.Lfunc_end22:
	.size	_ZN7rocprim17ROCPRIM_400000_NS6detail17trampoline_kernelINS0_14default_configENS1_22reduce_config_selectorIfEEZNS1_11reduce_implILb1ES3_N6thrust23THRUST_200600_302600_NS11hip_rocprim26transform_input_iterator_tIfNS8_17counting_iteratorIiNS8_11use_defaultESC_SC_EE11estimate_piEEPffNS8_4plusIfEEEE10hipError_tPvRmT1_T2_T3_mT4_P12ihipStream_tbEUlT_E0_NS1_11comp_targetILNS1_3genE2ELNS1_11target_archE906ELNS1_3gpuE6ELNS1_3repE0EEENS1_30default_config_static_selectorELNS0_4arch9wavefront6targetE0EEEvSM_, .Lfunc_end22-_ZN7rocprim17ROCPRIM_400000_NS6detail17trampoline_kernelINS0_14default_configENS1_22reduce_config_selectorIfEEZNS1_11reduce_implILb1ES3_N6thrust23THRUST_200600_302600_NS11hip_rocprim26transform_input_iterator_tIfNS8_17counting_iteratorIiNS8_11use_defaultESC_SC_EE11estimate_piEEPffNS8_4plusIfEEEE10hipError_tPvRmT1_T2_T3_mT4_P12ihipStream_tbEUlT_E0_NS1_11comp_targetILNS1_3genE2ELNS1_11target_archE906ELNS1_3gpuE6ELNS1_3repE0EEENS1_30default_config_static_selectorELNS0_4arch9wavefront6targetE0EEEvSM_
                                        ; -- End function
	.set _ZN7rocprim17ROCPRIM_400000_NS6detail17trampoline_kernelINS0_14default_configENS1_22reduce_config_selectorIfEEZNS1_11reduce_implILb1ES3_N6thrust23THRUST_200600_302600_NS11hip_rocprim26transform_input_iterator_tIfNS8_17counting_iteratorIiNS8_11use_defaultESC_SC_EE11estimate_piEEPffNS8_4plusIfEEEE10hipError_tPvRmT1_T2_T3_mT4_P12ihipStream_tbEUlT_E0_NS1_11comp_targetILNS1_3genE2ELNS1_11target_archE906ELNS1_3gpuE6ELNS1_3repE0EEENS1_30default_config_static_selectorELNS0_4arch9wavefront6targetE0EEEvSM_.num_vgpr, 0
	.set _ZN7rocprim17ROCPRIM_400000_NS6detail17trampoline_kernelINS0_14default_configENS1_22reduce_config_selectorIfEEZNS1_11reduce_implILb1ES3_N6thrust23THRUST_200600_302600_NS11hip_rocprim26transform_input_iterator_tIfNS8_17counting_iteratorIiNS8_11use_defaultESC_SC_EE11estimate_piEEPffNS8_4plusIfEEEE10hipError_tPvRmT1_T2_T3_mT4_P12ihipStream_tbEUlT_E0_NS1_11comp_targetILNS1_3genE2ELNS1_11target_archE906ELNS1_3gpuE6ELNS1_3repE0EEENS1_30default_config_static_selectorELNS0_4arch9wavefront6targetE0EEEvSM_.num_agpr, 0
	.set _ZN7rocprim17ROCPRIM_400000_NS6detail17trampoline_kernelINS0_14default_configENS1_22reduce_config_selectorIfEEZNS1_11reduce_implILb1ES3_N6thrust23THRUST_200600_302600_NS11hip_rocprim26transform_input_iterator_tIfNS8_17counting_iteratorIiNS8_11use_defaultESC_SC_EE11estimate_piEEPffNS8_4plusIfEEEE10hipError_tPvRmT1_T2_T3_mT4_P12ihipStream_tbEUlT_E0_NS1_11comp_targetILNS1_3genE2ELNS1_11target_archE906ELNS1_3gpuE6ELNS1_3repE0EEENS1_30default_config_static_selectorELNS0_4arch9wavefront6targetE0EEEvSM_.numbered_sgpr, 0
	.set _ZN7rocprim17ROCPRIM_400000_NS6detail17trampoline_kernelINS0_14default_configENS1_22reduce_config_selectorIfEEZNS1_11reduce_implILb1ES3_N6thrust23THRUST_200600_302600_NS11hip_rocprim26transform_input_iterator_tIfNS8_17counting_iteratorIiNS8_11use_defaultESC_SC_EE11estimate_piEEPffNS8_4plusIfEEEE10hipError_tPvRmT1_T2_T3_mT4_P12ihipStream_tbEUlT_E0_NS1_11comp_targetILNS1_3genE2ELNS1_11target_archE906ELNS1_3gpuE6ELNS1_3repE0EEENS1_30default_config_static_selectorELNS0_4arch9wavefront6targetE0EEEvSM_.num_named_barrier, 0
	.set _ZN7rocprim17ROCPRIM_400000_NS6detail17trampoline_kernelINS0_14default_configENS1_22reduce_config_selectorIfEEZNS1_11reduce_implILb1ES3_N6thrust23THRUST_200600_302600_NS11hip_rocprim26transform_input_iterator_tIfNS8_17counting_iteratorIiNS8_11use_defaultESC_SC_EE11estimate_piEEPffNS8_4plusIfEEEE10hipError_tPvRmT1_T2_T3_mT4_P12ihipStream_tbEUlT_E0_NS1_11comp_targetILNS1_3genE2ELNS1_11target_archE906ELNS1_3gpuE6ELNS1_3repE0EEENS1_30default_config_static_selectorELNS0_4arch9wavefront6targetE0EEEvSM_.private_seg_size, 0
	.set _ZN7rocprim17ROCPRIM_400000_NS6detail17trampoline_kernelINS0_14default_configENS1_22reduce_config_selectorIfEEZNS1_11reduce_implILb1ES3_N6thrust23THRUST_200600_302600_NS11hip_rocprim26transform_input_iterator_tIfNS8_17counting_iteratorIiNS8_11use_defaultESC_SC_EE11estimate_piEEPffNS8_4plusIfEEEE10hipError_tPvRmT1_T2_T3_mT4_P12ihipStream_tbEUlT_E0_NS1_11comp_targetILNS1_3genE2ELNS1_11target_archE906ELNS1_3gpuE6ELNS1_3repE0EEENS1_30default_config_static_selectorELNS0_4arch9wavefront6targetE0EEEvSM_.uses_vcc, 0
	.set _ZN7rocprim17ROCPRIM_400000_NS6detail17trampoline_kernelINS0_14default_configENS1_22reduce_config_selectorIfEEZNS1_11reduce_implILb1ES3_N6thrust23THRUST_200600_302600_NS11hip_rocprim26transform_input_iterator_tIfNS8_17counting_iteratorIiNS8_11use_defaultESC_SC_EE11estimate_piEEPffNS8_4plusIfEEEE10hipError_tPvRmT1_T2_T3_mT4_P12ihipStream_tbEUlT_E0_NS1_11comp_targetILNS1_3genE2ELNS1_11target_archE906ELNS1_3gpuE6ELNS1_3repE0EEENS1_30default_config_static_selectorELNS0_4arch9wavefront6targetE0EEEvSM_.uses_flat_scratch, 0
	.set _ZN7rocprim17ROCPRIM_400000_NS6detail17trampoline_kernelINS0_14default_configENS1_22reduce_config_selectorIfEEZNS1_11reduce_implILb1ES3_N6thrust23THRUST_200600_302600_NS11hip_rocprim26transform_input_iterator_tIfNS8_17counting_iteratorIiNS8_11use_defaultESC_SC_EE11estimate_piEEPffNS8_4plusIfEEEE10hipError_tPvRmT1_T2_T3_mT4_P12ihipStream_tbEUlT_E0_NS1_11comp_targetILNS1_3genE2ELNS1_11target_archE906ELNS1_3gpuE6ELNS1_3repE0EEENS1_30default_config_static_selectorELNS0_4arch9wavefront6targetE0EEEvSM_.has_dyn_sized_stack, 0
	.set _ZN7rocprim17ROCPRIM_400000_NS6detail17trampoline_kernelINS0_14default_configENS1_22reduce_config_selectorIfEEZNS1_11reduce_implILb1ES3_N6thrust23THRUST_200600_302600_NS11hip_rocprim26transform_input_iterator_tIfNS8_17counting_iteratorIiNS8_11use_defaultESC_SC_EE11estimate_piEEPffNS8_4plusIfEEEE10hipError_tPvRmT1_T2_T3_mT4_P12ihipStream_tbEUlT_E0_NS1_11comp_targetILNS1_3genE2ELNS1_11target_archE906ELNS1_3gpuE6ELNS1_3repE0EEENS1_30default_config_static_selectorELNS0_4arch9wavefront6targetE0EEEvSM_.has_recursion, 0
	.set _ZN7rocprim17ROCPRIM_400000_NS6detail17trampoline_kernelINS0_14default_configENS1_22reduce_config_selectorIfEEZNS1_11reduce_implILb1ES3_N6thrust23THRUST_200600_302600_NS11hip_rocprim26transform_input_iterator_tIfNS8_17counting_iteratorIiNS8_11use_defaultESC_SC_EE11estimate_piEEPffNS8_4plusIfEEEE10hipError_tPvRmT1_T2_T3_mT4_P12ihipStream_tbEUlT_E0_NS1_11comp_targetILNS1_3genE2ELNS1_11target_archE906ELNS1_3gpuE6ELNS1_3repE0EEENS1_30default_config_static_selectorELNS0_4arch9wavefront6targetE0EEEvSM_.has_indirect_call, 0
	.section	.AMDGPU.csdata,"",@progbits
; Kernel info:
; codeLenInByte = 0
; TotalNumSgprs: 0
; NumVgprs: 0
; ScratchSize: 0
; MemoryBound: 0
; FloatMode: 240
; IeeeMode: 1
; LDSByteSize: 0 bytes/workgroup (compile time only)
; SGPRBlocks: 0
; VGPRBlocks: 0
; NumSGPRsForWavesPerEU: 1
; NumVGPRsForWavesPerEU: 1
; Occupancy: 16
; WaveLimiterHint : 0
; COMPUTE_PGM_RSRC2:SCRATCH_EN: 0
; COMPUTE_PGM_RSRC2:USER_SGPR: 6
; COMPUTE_PGM_RSRC2:TRAP_HANDLER: 0
; COMPUTE_PGM_RSRC2:TGID_X_EN: 1
; COMPUTE_PGM_RSRC2:TGID_Y_EN: 0
; COMPUTE_PGM_RSRC2:TGID_Z_EN: 0
; COMPUTE_PGM_RSRC2:TIDIG_COMP_CNT: 0
	.section	.text._ZN7rocprim17ROCPRIM_400000_NS6detail17trampoline_kernelINS0_14default_configENS1_22reduce_config_selectorIfEEZNS1_11reduce_implILb1ES3_N6thrust23THRUST_200600_302600_NS11hip_rocprim26transform_input_iterator_tIfNS8_17counting_iteratorIiNS8_11use_defaultESC_SC_EE11estimate_piEEPffNS8_4plusIfEEEE10hipError_tPvRmT1_T2_T3_mT4_P12ihipStream_tbEUlT_E0_NS1_11comp_targetILNS1_3genE10ELNS1_11target_archE1201ELNS1_3gpuE5ELNS1_3repE0EEENS1_30default_config_static_selectorELNS0_4arch9wavefront6targetE0EEEvSM_,"axG",@progbits,_ZN7rocprim17ROCPRIM_400000_NS6detail17trampoline_kernelINS0_14default_configENS1_22reduce_config_selectorIfEEZNS1_11reduce_implILb1ES3_N6thrust23THRUST_200600_302600_NS11hip_rocprim26transform_input_iterator_tIfNS8_17counting_iteratorIiNS8_11use_defaultESC_SC_EE11estimate_piEEPffNS8_4plusIfEEEE10hipError_tPvRmT1_T2_T3_mT4_P12ihipStream_tbEUlT_E0_NS1_11comp_targetILNS1_3genE10ELNS1_11target_archE1201ELNS1_3gpuE5ELNS1_3repE0EEENS1_30default_config_static_selectorELNS0_4arch9wavefront6targetE0EEEvSM_,comdat
	.protected	_ZN7rocprim17ROCPRIM_400000_NS6detail17trampoline_kernelINS0_14default_configENS1_22reduce_config_selectorIfEEZNS1_11reduce_implILb1ES3_N6thrust23THRUST_200600_302600_NS11hip_rocprim26transform_input_iterator_tIfNS8_17counting_iteratorIiNS8_11use_defaultESC_SC_EE11estimate_piEEPffNS8_4plusIfEEEE10hipError_tPvRmT1_T2_T3_mT4_P12ihipStream_tbEUlT_E0_NS1_11comp_targetILNS1_3genE10ELNS1_11target_archE1201ELNS1_3gpuE5ELNS1_3repE0EEENS1_30default_config_static_selectorELNS0_4arch9wavefront6targetE0EEEvSM_ ; -- Begin function _ZN7rocprim17ROCPRIM_400000_NS6detail17trampoline_kernelINS0_14default_configENS1_22reduce_config_selectorIfEEZNS1_11reduce_implILb1ES3_N6thrust23THRUST_200600_302600_NS11hip_rocprim26transform_input_iterator_tIfNS8_17counting_iteratorIiNS8_11use_defaultESC_SC_EE11estimate_piEEPffNS8_4plusIfEEEE10hipError_tPvRmT1_T2_T3_mT4_P12ihipStream_tbEUlT_E0_NS1_11comp_targetILNS1_3genE10ELNS1_11target_archE1201ELNS1_3gpuE5ELNS1_3repE0EEENS1_30default_config_static_selectorELNS0_4arch9wavefront6targetE0EEEvSM_
	.globl	_ZN7rocprim17ROCPRIM_400000_NS6detail17trampoline_kernelINS0_14default_configENS1_22reduce_config_selectorIfEEZNS1_11reduce_implILb1ES3_N6thrust23THRUST_200600_302600_NS11hip_rocprim26transform_input_iterator_tIfNS8_17counting_iteratorIiNS8_11use_defaultESC_SC_EE11estimate_piEEPffNS8_4plusIfEEEE10hipError_tPvRmT1_T2_T3_mT4_P12ihipStream_tbEUlT_E0_NS1_11comp_targetILNS1_3genE10ELNS1_11target_archE1201ELNS1_3gpuE5ELNS1_3repE0EEENS1_30default_config_static_selectorELNS0_4arch9wavefront6targetE0EEEvSM_
	.p2align	8
	.type	_ZN7rocprim17ROCPRIM_400000_NS6detail17trampoline_kernelINS0_14default_configENS1_22reduce_config_selectorIfEEZNS1_11reduce_implILb1ES3_N6thrust23THRUST_200600_302600_NS11hip_rocprim26transform_input_iterator_tIfNS8_17counting_iteratorIiNS8_11use_defaultESC_SC_EE11estimate_piEEPffNS8_4plusIfEEEE10hipError_tPvRmT1_T2_T3_mT4_P12ihipStream_tbEUlT_E0_NS1_11comp_targetILNS1_3genE10ELNS1_11target_archE1201ELNS1_3gpuE5ELNS1_3repE0EEENS1_30default_config_static_selectorELNS0_4arch9wavefront6targetE0EEEvSM_,@function
_ZN7rocprim17ROCPRIM_400000_NS6detail17trampoline_kernelINS0_14default_configENS1_22reduce_config_selectorIfEEZNS1_11reduce_implILb1ES3_N6thrust23THRUST_200600_302600_NS11hip_rocprim26transform_input_iterator_tIfNS8_17counting_iteratorIiNS8_11use_defaultESC_SC_EE11estimate_piEEPffNS8_4plusIfEEEE10hipError_tPvRmT1_T2_T3_mT4_P12ihipStream_tbEUlT_E0_NS1_11comp_targetILNS1_3genE10ELNS1_11target_archE1201ELNS1_3gpuE5ELNS1_3repE0EEENS1_30default_config_static_selectorELNS0_4arch9wavefront6targetE0EEEvSM_: ; @_ZN7rocprim17ROCPRIM_400000_NS6detail17trampoline_kernelINS0_14default_configENS1_22reduce_config_selectorIfEEZNS1_11reduce_implILb1ES3_N6thrust23THRUST_200600_302600_NS11hip_rocprim26transform_input_iterator_tIfNS8_17counting_iteratorIiNS8_11use_defaultESC_SC_EE11estimate_piEEPffNS8_4plusIfEEEE10hipError_tPvRmT1_T2_T3_mT4_P12ihipStream_tbEUlT_E0_NS1_11comp_targetILNS1_3genE10ELNS1_11target_archE1201ELNS1_3gpuE5ELNS1_3repE0EEENS1_30default_config_static_selectorELNS0_4arch9wavefront6targetE0EEEvSM_
; %bb.0:
	.section	.rodata,"a",@progbits
	.p2align	6, 0x0
	.amdhsa_kernel _ZN7rocprim17ROCPRIM_400000_NS6detail17trampoline_kernelINS0_14default_configENS1_22reduce_config_selectorIfEEZNS1_11reduce_implILb1ES3_N6thrust23THRUST_200600_302600_NS11hip_rocprim26transform_input_iterator_tIfNS8_17counting_iteratorIiNS8_11use_defaultESC_SC_EE11estimate_piEEPffNS8_4plusIfEEEE10hipError_tPvRmT1_T2_T3_mT4_P12ihipStream_tbEUlT_E0_NS1_11comp_targetILNS1_3genE10ELNS1_11target_archE1201ELNS1_3gpuE5ELNS1_3repE0EEENS1_30default_config_static_selectorELNS0_4arch9wavefront6targetE0EEEvSM_
		.amdhsa_group_segment_fixed_size 0
		.amdhsa_private_segment_fixed_size 0
		.amdhsa_kernarg_size 56
		.amdhsa_user_sgpr_count 6
		.amdhsa_user_sgpr_private_segment_buffer 1
		.amdhsa_user_sgpr_dispatch_ptr 0
		.amdhsa_user_sgpr_queue_ptr 0
		.amdhsa_user_sgpr_kernarg_segment_ptr 1
		.amdhsa_user_sgpr_dispatch_id 0
		.amdhsa_user_sgpr_flat_scratch_init 0
		.amdhsa_user_sgpr_private_segment_size 0
		.amdhsa_wavefront_size32 1
		.amdhsa_uses_dynamic_stack 0
		.amdhsa_system_sgpr_private_segment_wavefront_offset 0
		.amdhsa_system_sgpr_workgroup_id_x 1
		.amdhsa_system_sgpr_workgroup_id_y 0
		.amdhsa_system_sgpr_workgroup_id_z 0
		.amdhsa_system_sgpr_workgroup_info 0
		.amdhsa_system_vgpr_workitem_id 0
		.amdhsa_next_free_vgpr 1
		.amdhsa_next_free_sgpr 1
		.amdhsa_reserve_vcc 0
		.amdhsa_reserve_flat_scratch 0
		.amdhsa_float_round_mode_32 0
		.amdhsa_float_round_mode_16_64 0
		.amdhsa_float_denorm_mode_32 3
		.amdhsa_float_denorm_mode_16_64 3
		.amdhsa_dx10_clamp 1
		.amdhsa_ieee_mode 1
		.amdhsa_fp16_overflow 0
		.amdhsa_workgroup_processor_mode 1
		.amdhsa_memory_ordered 1
		.amdhsa_forward_progress 1
		.amdhsa_shared_vgpr_count 0
		.amdhsa_exception_fp_ieee_invalid_op 0
		.amdhsa_exception_fp_denorm_src 0
		.amdhsa_exception_fp_ieee_div_zero 0
		.amdhsa_exception_fp_ieee_overflow 0
		.amdhsa_exception_fp_ieee_underflow 0
		.amdhsa_exception_fp_ieee_inexact 0
		.amdhsa_exception_int_div_zero 0
	.end_amdhsa_kernel
	.section	.text._ZN7rocprim17ROCPRIM_400000_NS6detail17trampoline_kernelINS0_14default_configENS1_22reduce_config_selectorIfEEZNS1_11reduce_implILb1ES3_N6thrust23THRUST_200600_302600_NS11hip_rocprim26transform_input_iterator_tIfNS8_17counting_iteratorIiNS8_11use_defaultESC_SC_EE11estimate_piEEPffNS8_4plusIfEEEE10hipError_tPvRmT1_T2_T3_mT4_P12ihipStream_tbEUlT_E0_NS1_11comp_targetILNS1_3genE10ELNS1_11target_archE1201ELNS1_3gpuE5ELNS1_3repE0EEENS1_30default_config_static_selectorELNS0_4arch9wavefront6targetE0EEEvSM_,"axG",@progbits,_ZN7rocprim17ROCPRIM_400000_NS6detail17trampoline_kernelINS0_14default_configENS1_22reduce_config_selectorIfEEZNS1_11reduce_implILb1ES3_N6thrust23THRUST_200600_302600_NS11hip_rocprim26transform_input_iterator_tIfNS8_17counting_iteratorIiNS8_11use_defaultESC_SC_EE11estimate_piEEPffNS8_4plusIfEEEE10hipError_tPvRmT1_T2_T3_mT4_P12ihipStream_tbEUlT_E0_NS1_11comp_targetILNS1_3genE10ELNS1_11target_archE1201ELNS1_3gpuE5ELNS1_3repE0EEENS1_30default_config_static_selectorELNS0_4arch9wavefront6targetE0EEEvSM_,comdat
.Lfunc_end23:
	.size	_ZN7rocprim17ROCPRIM_400000_NS6detail17trampoline_kernelINS0_14default_configENS1_22reduce_config_selectorIfEEZNS1_11reduce_implILb1ES3_N6thrust23THRUST_200600_302600_NS11hip_rocprim26transform_input_iterator_tIfNS8_17counting_iteratorIiNS8_11use_defaultESC_SC_EE11estimate_piEEPffNS8_4plusIfEEEE10hipError_tPvRmT1_T2_T3_mT4_P12ihipStream_tbEUlT_E0_NS1_11comp_targetILNS1_3genE10ELNS1_11target_archE1201ELNS1_3gpuE5ELNS1_3repE0EEENS1_30default_config_static_selectorELNS0_4arch9wavefront6targetE0EEEvSM_, .Lfunc_end23-_ZN7rocprim17ROCPRIM_400000_NS6detail17trampoline_kernelINS0_14default_configENS1_22reduce_config_selectorIfEEZNS1_11reduce_implILb1ES3_N6thrust23THRUST_200600_302600_NS11hip_rocprim26transform_input_iterator_tIfNS8_17counting_iteratorIiNS8_11use_defaultESC_SC_EE11estimate_piEEPffNS8_4plusIfEEEE10hipError_tPvRmT1_T2_T3_mT4_P12ihipStream_tbEUlT_E0_NS1_11comp_targetILNS1_3genE10ELNS1_11target_archE1201ELNS1_3gpuE5ELNS1_3repE0EEENS1_30default_config_static_selectorELNS0_4arch9wavefront6targetE0EEEvSM_
                                        ; -- End function
	.set _ZN7rocprim17ROCPRIM_400000_NS6detail17trampoline_kernelINS0_14default_configENS1_22reduce_config_selectorIfEEZNS1_11reduce_implILb1ES3_N6thrust23THRUST_200600_302600_NS11hip_rocprim26transform_input_iterator_tIfNS8_17counting_iteratorIiNS8_11use_defaultESC_SC_EE11estimate_piEEPffNS8_4plusIfEEEE10hipError_tPvRmT1_T2_T3_mT4_P12ihipStream_tbEUlT_E0_NS1_11comp_targetILNS1_3genE10ELNS1_11target_archE1201ELNS1_3gpuE5ELNS1_3repE0EEENS1_30default_config_static_selectorELNS0_4arch9wavefront6targetE0EEEvSM_.num_vgpr, 0
	.set _ZN7rocprim17ROCPRIM_400000_NS6detail17trampoline_kernelINS0_14default_configENS1_22reduce_config_selectorIfEEZNS1_11reduce_implILb1ES3_N6thrust23THRUST_200600_302600_NS11hip_rocprim26transform_input_iterator_tIfNS8_17counting_iteratorIiNS8_11use_defaultESC_SC_EE11estimate_piEEPffNS8_4plusIfEEEE10hipError_tPvRmT1_T2_T3_mT4_P12ihipStream_tbEUlT_E0_NS1_11comp_targetILNS1_3genE10ELNS1_11target_archE1201ELNS1_3gpuE5ELNS1_3repE0EEENS1_30default_config_static_selectorELNS0_4arch9wavefront6targetE0EEEvSM_.num_agpr, 0
	.set _ZN7rocprim17ROCPRIM_400000_NS6detail17trampoline_kernelINS0_14default_configENS1_22reduce_config_selectorIfEEZNS1_11reduce_implILb1ES3_N6thrust23THRUST_200600_302600_NS11hip_rocprim26transform_input_iterator_tIfNS8_17counting_iteratorIiNS8_11use_defaultESC_SC_EE11estimate_piEEPffNS8_4plusIfEEEE10hipError_tPvRmT1_T2_T3_mT4_P12ihipStream_tbEUlT_E0_NS1_11comp_targetILNS1_3genE10ELNS1_11target_archE1201ELNS1_3gpuE5ELNS1_3repE0EEENS1_30default_config_static_selectorELNS0_4arch9wavefront6targetE0EEEvSM_.numbered_sgpr, 0
	.set _ZN7rocprim17ROCPRIM_400000_NS6detail17trampoline_kernelINS0_14default_configENS1_22reduce_config_selectorIfEEZNS1_11reduce_implILb1ES3_N6thrust23THRUST_200600_302600_NS11hip_rocprim26transform_input_iterator_tIfNS8_17counting_iteratorIiNS8_11use_defaultESC_SC_EE11estimate_piEEPffNS8_4plusIfEEEE10hipError_tPvRmT1_T2_T3_mT4_P12ihipStream_tbEUlT_E0_NS1_11comp_targetILNS1_3genE10ELNS1_11target_archE1201ELNS1_3gpuE5ELNS1_3repE0EEENS1_30default_config_static_selectorELNS0_4arch9wavefront6targetE0EEEvSM_.num_named_barrier, 0
	.set _ZN7rocprim17ROCPRIM_400000_NS6detail17trampoline_kernelINS0_14default_configENS1_22reduce_config_selectorIfEEZNS1_11reduce_implILb1ES3_N6thrust23THRUST_200600_302600_NS11hip_rocprim26transform_input_iterator_tIfNS8_17counting_iteratorIiNS8_11use_defaultESC_SC_EE11estimate_piEEPffNS8_4plusIfEEEE10hipError_tPvRmT1_T2_T3_mT4_P12ihipStream_tbEUlT_E0_NS1_11comp_targetILNS1_3genE10ELNS1_11target_archE1201ELNS1_3gpuE5ELNS1_3repE0EEENS1_30default_config_static_selectorELNS0_4arch9wavefront6targetE0EEEvSM_.private_seg_size, 0
	.set _ZN7rocprim17ROCPRIM_400000_NS6detail17trampoline_kernelINS0_14default_configENS1_22reduce_config_selectorIfEEZNS1_11reduce_implILb1ES3_N6thrust23THRUST_200600_302600_NS11hip_rocprim26transform_input_iterator_tIfNS8_17counting_iteratorIiNS8_11use_defaultESC_SC_EE11estimate_piEEPffNS8_4plusIfEEEE10hipError_tPvRmT1_T2_T3_mT4_P12ihipStream_tbEUlT_E0_NS1_11comp_targetILNS1_3genE10ELNS1_11target_archE1201ELNS1_3gpuE5ELNS1_3repE0EEENS1_30default_config_static_selectorELNS0_4arch9wavefront6targetE0EEEvSM_.uses_vcc, 0
	.set _ZN7rocprim17ROCPRIM_400000_NS6detail17trampoline_kernelINS0_14default_configENS1_22reduce_config_selectorIfEEZNS1_11reduce_implILb1ES3_N6thrust23THRUST_200600_302600_NS11hip_rocprim26transform_input_iterator_tIfNS8_17counting_iteratorIiNS8_11use_defaultESC_SC_EE11estimate_piEEPffNS8_4plusIfEEEE10hipError_tPvRmT1_T2_T3_mT4_P12ihipStream_tbEUlT_E0_NS1_11comp_targetILNS1_3genE10ELNS1_11target_archE1201ELNS1_3gpuE5ELNS1_3repE0EEENS1_30default_config_static_selectorELNS0_4arch9wavefront6targetE0EEEvSM_.uses_flat_scratch, 0
	.set _ZN7rocprim17ROCPRIM_400000_NS6detail17trampoline_kernelINS0_14default_configENS1_22reduce_config_selectorIfEEZNS1_11reduce_implILb1ES3_N6thrust23THRUST_200600_302600_NS11hip_rocprim26transform_input_iterator_tIfNS8_17counting_iteratorIiNS8_11use_defaultESC_SC_EE11estimate_piEEPffNS8_4plusIfEEEE10hipError_tPvRmT1_T2_T3_mT4_P12ihipStream_tbEUlT_E0_NS1_11comp_targetILNS1_3genE10ELNS1_11target_archE1201ELNS1_3gpuE5ELNS1_3repE0EEENS1_30default_config_static_selectorELNS0_4arch9wavefront6targetE0EEEvSM_.has_dyn_sized_stack, 0
	.set _ZN7rocprim17ROCPRIM_400000_NS6detail17trampoline_kernelINS0_14default_configENS1_22reduce_config_selectorIfEEZNS1_11reduce_implILb1ES3_N6thrust23THRUST_200600_302600_NS11hip_rocprim26transform_input_iterator_tIfNS8_17counting_iteratorIiNS8_11use_defaultESC_SC_EE11estimate_piEEPffNS8_4plusIfEEEE10hipError_tPvRmT1_T2_T3_mT4_P12ihipStream_tbEUlT_E0_NS1_11comp_targetILNS1_3genE10ELNS1_11target_archE1201ELNS1_3gpuE5ELNS1_3repE0EEENS1_30default_config_static_selectorELNS0_4arch9wavefront6targetE0EEEvSM_.has_recursion, 0
	.set _ZN7rocprim17ROCPRIM_400000_NS6detail17trampoline_kernelINS0_14default_configENS1_22reduce_config_selectorIfEEZNS1_11reduce_implILb1ES3_N6thrust23THRUST_200600_302600_NS11hip_rocprim26transform_input_iterator_tIfNS8_17counting_iteratorIiNS8_11use_defaultESC_SC_EE11estimate_piEEPffNS8_4plusIfEEEE10hipError_tPvRmT1_T2_T3_mT4_P12ihipStream_tbEUlT_E0_NS1_11comp_targetILNS1_3genE10ELNS1_11target_archE1201ELNS1_3gpuE5ELNS1_3repE0EEENS1_30default_config_static_selectorELNS0_4arch9wavefront6targetE0EEEvSM_.has_indirect_call, 0
	.section	.AMDGPU.csdata,"",@progbits
; Kernel info:
; codeLenInByte = 0
; TotalNumSgprs: 0
; NumVgprs: 0
; ScratchSize: 0
; MemoryBound: 0
; FloatMode: 240
; IeeeMode: 1
; LDSByteSize: 0 bytes/workgroup (compile time only)
; SGPRBlocks: 0
; VGPRBlocks: 0
; NumSGPRsForWavesPerEU: 1
; NumVGPRsForWavesPerEU: 1
; Occupancy: 16
; WaveLimiterHint : 0
; COMPUTE_PGM_RSRC2:SCRATCH_EN: 0
; COMPUTE_PGM_RSRC2:USER_SGPR: 6
; COMPUTE_PGM_RSRC2:TRAP_HANDLER: 0
; COMPUTE_PGM_RSRC2:TGID_X_EN: 1
; COMPUTE_PGM_RSRC2:TGID_Y_EN: 0
; COMPUTE_PGM_RSRC2:TGID_Z_EN: 0
; COMPUTE_PGM_RSRC2:TIDIG_COMP_CNT: 0
	.section	.text._ZN7rocprim17ROCPRIM_400000_NS6detail17trampoline_kernelINS0_14default_configENS1_22reduce_config_selectorIfEEZNS1_11reduce_implILb1ES3_N6thrust23THRUST_200600_302600_NS11hip_rocprim26transform_input_iterator_tIfNS8_17counting_iteratorIiNS8_11use_defaultESC_SC_EE11estimate_piEEPffNS8_4plusIfEEEE10hipError_tPvRmT1_T2_T3_mT4_P12ihipStream_tbEUlT_E0_NS1_11comp_targetILNS1_3genE10ELNS1_11target_archE1200ELNS1_3gpuE4ELNS1_3repE0EEENS1_30default_config_static_selectorELNS0_4arch9wavefront6targetE0EEEvSM_,"axG",@progbits,_ZN7rocprim17ROCPRIM_400000_NS6detail17trampoline_kernelINS0_14default_configENS1_22reduce_config_selectorIfEEZNS1_11reduce_implILb1ES3_N6thrust23THRUST_200600_302600_NS11hip_rocprim26transform_input_iterator_tIfNS8_17counting_iteratorIiNS8_11use_defaultESC_SC_EE11estimate_piEEPffNS8_4plusIfEEEE10hipError_tPvRmT1_T2_T3_mT4_P12ihipStream_tbEUlT_E0_NS1_11comp_targetILNS1_3genE10ELNS1_11target_archE1200ELNS1_3gpuE4ELNS1_3repE0EEENS1_30default_config_static_selectorELNS0_4arch9wavefront6targetE0EEEvSM_,comdat
	.protected	_ZN7rocprim17ROCPRIM_400000_NS6detail17trampoline_kernelINS0_14default_configENS1_22reduce_config_selectorIfEEZNS1_11reduce_implILb1ES3_N6thrust23THRUST_200600_302600_NS11hip_rocprim26transform_input_iterator_tIfNS8_17counting_iteratorIiNS8_11use_defaultESC_SC_EE11estimate_piEEPffNS8_4plusIfEEEE10hipError_tPvRmT1_T2_T3_mT4_P12ihipStream_tbEUlT_E0_NS1_11comp_targetILNS1_3genE10ELNS1_11target_archE1200ELNS1_3gpuE4ELNS1_3repE0EEENS1_30default_config_static_selectorELNS0_4arch9wavefront6targetE0EEEvSM_ ; -- Begin function _ZN7rocprim17ROCPRIM_400000_NS6detail17trampoline_kernelINS0_14default_configENS1_22reduce_config_selectorIfEEZNS1_11reduce_implILb1ES3_N6thrust23THRUST_200600_302600_NS11hip_rocprim26transform_input_iterator_tIfNS8_17counting_iteratorIiNS8_11use_defaultESC_SC_EE11estimate_piEEPffNS8_4plusIfEEEE10hipError_tPvRmT1_T2_T3_mT4_P12ihipStream_tbEUlT_E0_NS1_11comp_targetILNS1_3genE10ELNS1_11target_archE1200ELNS1_3gpuE4ELNS1_3repE0EEENS1_30default_config_static_selectorELNS0_4arch9wavefront6targetE0EEEvSM_
	.globl	_ZN7rocprim17ROCPRIM_400000_NS6detail17trampoline_kernelINS0_14default_configENS1_22reduce_config_selectorIfEEZNS1_11reduce_implILb1ES3_N6thrust23THRUST_200600_302600_NS11hip_rocprim26transform_input_iterator_tIfNS8_17counting_iteratorIiNS8_11use_defaultESC_SC_EE11estimate_piEEPffNS8_4plusIfEEEE10hipError_tPvRmT1_T2_T3_mT4_P12ihipStream_tbEUlT_E0_NS1_11comp_targetILNS1_3genE10ELNS1_11target_archE1200ELNS1_3gpuE4ELNS1_3repE0EEENS1_30default_config_static_selectorELNS0_4arch9wavefront6targetE0EEEvSM_
	.p2align	8
	.type	_ZN7rocprim17ROCPRIM_400000_NS6detail17trampoline_kernelINS0_14default_configENS1_22reduce_config_selectorIfEEZNS1_11reduce_implILb1ES3_N6thrust23THRUST_200600_302600_NS11hip_rocprim26transform_input_iterator_tIfNS8_17counting_iteratorIiNS8_11use_defaultESC_SC_EE11estimate_piEEPffNS8_4plusIfEEEE10hipError_tPvRmT1_T2_T3_mT4_P12ihipStream_tbEUlT_E0_NS1_11comp_targetILNS1_3genE10ELNS1_11target_archE1200ELNS1_3gpuE4ELNS1_3repE0EEENS1_30default_config_static_selectorELNS0_4arch9wavefront6targetE0EEEvSM_,@function
_ZN7rocprim17ROCPRIM_400000_NS6detail17trampoline_kernelINS0_14default_configENS1_22reduce_config_selectorIfEEZNS1_11reduce_implILb1ES3_N6thrust23THRUST_200600_302600_NS11hip_rocprim26transform_input_iterator_tIfNS8_17counting_iteratorIiNS8_11use_defaultESC_SC_EE11estimate_piEEPffNS8_4plusIfEEEE10hipError_tPvRmT1_T2_T3_mT4_P12ihipStream_tbEUlT_E0_NS1_11comp_targetILNS1_3genE10ELNS1_11target_archE1200ELNS1_3gpuE4ELNS1_3repE0EEENS1_30default_config_static_selectorELNS0_4arch9wavefront6targetE0EEEvSM_: ; @_ZN7rocprim17ROCPRIM_400000_NS6detail17trampoline_kernelINS0_14default_configENS1_22reduce_config_selectorIfEEZNS1_11reduce_implILb1ES3_N6thrust23THRUST_200600_302600_NS11hip_rocprim26transform_input_iterator_tIfNS8_17counting_iteratorIiNS8_11use_defaultESC_SC_EE11estimate_piEEPffNS8_4plusIfEEEE10hipError_tPvRmT1_T2_T3_mT4_P12ihipStream_tbEUlT_E0_NS1_11comp_targetILNS1_3genE10ELNS1_11target_archE1200ELNS1_3gpuE4ELNS1_3repE0EEENS1_30default_config_static_selectorELNS0_4arch9wavefront6targetE0EEEvSM_
; %bb.0:
	.section	.rodata,"a",@progbits
	.p2align	6, 0x0
	.amdhsa_kernel _ZN7rocprim17ROCPRIM_400000_NS6detail17trampoline_kernelINS0_14default_configENS1_22reduce_config_selectorIfEEZNS1_11reduce_implILb1ES3_N6thrust23THRUST_200600_302600_NS11hip_rocprim26transform_input_iterator_tIfNS8_17counting_iteratorIiNS8_11use_defaultESC_SC_EE11estimate_piEEPffNS8_4plusIfEEEE10hipError_tPvRmT1_T2_T3_mT4_P12ihipStream_tbEUlT_E0_NS1_11comp_targetILNS1_3genE10ELNS1_11target_archE1200ELNS1_3gpuE4ELNS1_3repE0EEENS1_30default_config_static_selectorELNS0_4arch9wavefront6targetE0EEEvSM_
		.amdhsa_group_segment_fixed_size 0
		.amdhsa_private_segment_fixed_size 0
		.amdhsa_kernarg_size 56
		.amdhsa_user_sgpr_count 6
		.amdhsa_user_sgpr_private_segment_buffer 1
		.amdhsa_user_sgpr_dispatch_ptr 0
		.amdhsa_user_sgpr_queue_ptr 0
		.amdhsa_user_sgpr_kernarg_segment_ptr 1
		.amdhsa_user_sgpr_dispatch_id 0
		.amdhsa_user_sgpr_flat_scratch_init 0
		.amdhsa_user_sgpr_private_segment_size 0
		.amdhsa_wavefront_size32 1
		.amdhsa_uses_dynamic_stack 0
		.amdhsa_system_sgpr_private_segment_wavefront_offset 0
		.amdhsa_system_sgpr_workgroup_id_x 1
		.amdhsa_system_sgpr_workgroup_id_y 0
		.amdhsa_system_sgpr_workgroup_id_z 0
		.amdhsa_system_sgpr_workgroup_info 0
		.amdhsa_system_vgpr_workitem_id 0
		.amdhsa_next_free_vgpr 1
		.amdhsa_next_free_sgpr 1
		.amdhsa_reserve_vcc 0
		.amdhsa_reserve_flat_scratch 0
		.amdhsa_float_round_mode_32 0
		.amdhsa_float_round_mode_16_64 0
		.amdhsa_float_denorm_mode_32 3
		.amdhsa_float_denorm_mode_16_64 3
		.amdhsa_dx10_clamp 1
		.amdhsa_ieee_mode 1
		.amdhsa_fp16_overflow 0
		.amdhsa_workgroup_processor_mode 1
		.amdhsa_memory_ordered 1
		.amdhsa_forward_progress 1
		.amdhsa_shared_vgpr_count 0
		.amdhsa_exception_fp_ieee_invalid_op 0
		.amdhsa_exception_fp_denorm_src 0
		.amdhsa_exception_fp_ieee_div_zero 0
		.amdhsa_exception_fp_ieee_overflow 0
		.amdhsa_exception_fp_ieee_underflow 0
		.amdhsa_exception_fp_ieee_inexact 0
		.amdhsa_exception_int_div_zero 0
	.end_amdhsa_kernel
	.section	.text._ZN7rocprim17ROCPRIM_400000_NS6detail17trampoline_kernelINS0_14default_configENS1_22reduce_config_selectorIfEEZNS1_11reduce_implILb1ES3_N6thrust23THRUST_200600_302600_NS11hip_rocprim26transform_input_iterator_tIfNS8_17counting_iteratorIiNS8_11use_defaultESC_SC_EE11estimate_piEEPffNS8_4plusIfEEEE10hipError_tPvRmT1_T2_T3_mT4_P12ihipStream_tbEUlT_E0_NS1_11comp_targetILNS1_3genE10ELNS1_11target_archE1200ELNS1_3gpuE4ELNS1_3repE0EEENS1_30default_config_static_selectorELNS0_4arch9wavefront6targetE0EEEvSM_,"axG",@progbits,_ZN7rocprim17ROCPRIM_400000_NS6detail17trampoline_kernelINS0_14default_configENS1_22reduce_config_selectorIfEEZNS1_11reduce_implILb1ES3_N6thrust23THRUST_200600_302600_NS11hip_rocprim26transform_input_iterator_tIfNS8_17counting_iteratorIiNS8_11use_defaultESC_SC_EE11estimate_piEEPffNS8_4plusIfEEEE10hipError_tPvRmT1_T2_T3_mT4_P12ihipStream_tbEUlT_E0_NS1_11comp_targetILNS1_3genE10ELNS1_11target_archE1200ELNS1_3gpuE4ELNS1_3repE0EEENS1_30default_config_static_selectorELNS0_4arch9wavefront6targetE0EEEvSM_,comdat
.Lfunc_end24:
	.size	_ZN7rocprim17ROCPRIM_400000_NS6detail17trampoline_kernelINS0_14default_configENS1_22reduce_config_selectorIfEEZNS1_11reduce_implILb1ES3_N6thrust23THRUST_200600_302600_NS11hip_rocprim26transform_input_iterator_tIfNS8_17counting_iteratorIiNS8_11use_defaultESC_SC_EE11estimate_piEEPffNS8_4plusIfEEEE10hipError_tPvRmT1_T2_T3_mT4_P12ihipStream_tbEUlT_E0_NS1_11comp_targetILNS1_3genE10ELNS1_11target_archE1200ELNS1_3gpuE4ELNS1_3repE0EEENS1_30default_config_static_selectorELNS0_4arch9wavefront6targetE0EEEvSM_, .Lfunc_end24-_ZN7rocprim17ROCPRIM_400000_NS6detail17trampoline_kernelINS0_14default_configENS1_22reduce_config_selectorIfEEZNS1_11reduce_implILb1ES3_N6thrust23THRUST_200600_302600_NS11hip_rocprim26transform_input_iterator_tIfNS8_17counting_iteratorIiNS8_11use_defaultESC_SC_EE11estimate_piEEPffNS8_4plusIfEEEE10hipError_tPvRmT1_T2_T3_mT4_P12ihipStream_tbEUlT_E0_NS1_11comp_targetILNS1_3genE10ELNS1_11target_archE1200ELNS1_3gpuE4ELNS1_3repE0EEENS1_30default_config_static_selectorELNS0_4arch9wavefront6targetE0EEEvSM_
                                        ; -- End function
	.set _ZN7rocprim17ROCPRIM_400000_NS6detail17trampoline_kernelINS0_14default_configENS1_22reduce_config_selectorIfEEZNS1_11reduce_implILb1ES3_N6thrust23THRUST_200600_302600_NS11hip_rocprim26transform_input_iterator_tIfNS8_17counting_iteratorIiNS8_11use_defaultESC_SC_EE11estimate_piEEPffNS8_4plusIfEEEE10hipError_tPvRmT1_T2_T3_mT4_P12ihipStream_tbEUlT_E0_NS1_11comp_targetILNS1_3genE10ELNS1_11target_archE1200ELNS1_3gpuE4ELNS1_3repE0EEENS1_30default_config_static_selectorELNS0_4arch9wavefront6targetE0EEEvSM_.num_vgpr, 0
	.set _ZN7rocprim17ROCPRIM_400000_NS6detail17trampoline_kernelINS0_14default_configENS1_22reduce_config_selectorIfEEZNS1_11reduce_implILb1ES3_N6thrust23THRUST_200600_302600_NS11hip_rocprim26transform_input_iterator_tIfNS8_17counting_iteratorIiNS8_11use_defaultESC_SC_EE11estimate_piEEPffNS8_4plusIfEEEE10hipError_tPvRmT1_T2_T3_mT4_P12ihipStream_tbEUlT_E0_NS1_11comp_targetILNS1_3genE10ELNS1_11target_archE1200ELNS1_3gpuE4ELNS1_3repE0EEENS1_30default_config_static_selectorELNS0_4arch9wavefront6targetE0EEEvSM_.num_agpr, 0
	.set _ZN7rocprim17ROCPRIM_400000_NS6detail17trampoline_kernelINS0_14default_configENS1_22reduce_config_selectorIfEEZNS1_11reduce_implILb1ES3_N6thrust23THRUST_200600_302600_NS11hip_rocprim26transform_input_iterator_tIfNS8_17counting_iteratorIiNS8_11use_defaultESC_SC_EE11estimate_piEEPffNS8_4plusIfEEEE10hipError_tPvRmT1_T2_T3_mT4_P12ihipStream_tbEUlT_E0_NS1_11comp_targetILNS1_3genE10ELNS1_11target_archE1200ELNS1_3gpuE4ELNS1_3repE0EEENS1_30default_config_static_selectorELNS0_4arch9wavefront6targetE0EEEvSM_.numbered_sgpr, 0
	.set _ZN7rocprim17ROCPRIM_400000_NS6detail17trampoline_kernelINS0_14default_configENS1_22reduce_config_selectorIfEEZNS1_11reduce_implILb1ES3_N6thrust23THRUST_200600_302600_NS11hip_rocprim26transform_input_iterator_tIfNS8_17counting_iteratorIiNS8_11use_defaultESC_SC_EE11estimate_piEEPffNS8_4plusIfEEEE10hipError_tPvRmT1_T2_T3_mT4_P12ihipStream_tbEUlT_E0_NS1_11comp_targetILNS1_3genE10ELNS1_11target_archE1200ELNS1_3gpuE4ELNS1_3repE0EEENS1_30default_config_static_selectorELNS0_4arch9wavefront6targetE0EEEvSM_.num_named_barrier, 0
	.set _ZN7rocprim17ROCPRIM_400000_NS6detail17trampoline_kernelINS0_14default_configENS1_22reduce_config_selectorIfEEZNS1_11reduce_implILb1ES3_N6thrust23THRUST_200600_302600_NS11hip_rocprim26transform_input_iterator_tIfNS8_17counting_iteratorIiNS8_11use_defaultESC_SC_EE11estimate_piEEPffNS8_4plusIfEEEE10hipError_tPvRmT1_T2_T3_mT4_P12ihipStream_tbEUlT_E0_NS1_11comp_targetILNS1_3genE10ELNS1_11target_archE1200ELNS1_3gpuE4ELNS1_3repE0EEENS1_30default_config_static_selectorELNS0_4arch9wavefront6targetE0EEEvSM_.private_seg_size, 0
	.set _ZN7rocprim17ROCPRIM_400000_NS6detail17trampoline_kernelINS0_14default_configENS1_22reduce_config_selectorIfEEZNS1_11reduce_implILb1ES3_N6thrust23THRUST_200600_302600_NS11hip_rocprim26transform_input_iterator_tIfNS8_17counting_iteratorIiNS8_11use_defaultESC_SC_EE11estimate_piEEPffNS8_4plusIfEEEE10hipError_tPvRmT1_T2_T3_mT4_P12ihipStream_tbEUlT_E0_NS1_11comp_targetILNS1_3genE10ELNS1_11target_archE1200ELNS1_3gpuE4ELNS1_3repE0EEENS1_30default_config_static_selectorELNS0_4arch9wavefront6targetE0EEEvSM_.uses_vcc, 0
	.set _ZN7rocprim17ROCPRIM_400000_NS6detail17trampoline_kernelINS0_14default_configENS1_22reduce_config_selectorIfEEZNS1_11reduce_implILb1ES3_N6thrust23THRUST_200600_302600_NS11hip_rocprim26transform_input_iterator_tIfNS8_17counting_iteratorIiNS8_11use_defaultESC_SC_EE11estimate_piEEPffNS8_4plusIfEEEE10hipError_tPvRmT1_T2_T3_mT4_P12ihipStream_tbEUlT_E0_NS1_11comp_targetILNS1_3genE10ELNS1_11target_archE1200ELNS1_3gpuE4ELNS1_3repE0EEENS1_30default_config_static_selectorELNS0_4arch9wavefront6targetE0EEEvSM_.uses_flat_scratch, 0
	.set _ZN7rocprim17ROCPRIM_400000_NS6detail17trampoline_kernelINS0_14default_configENS1_22reduce_config_selectorIfEEZNS1_11reduce_implILb1ES3_N6thrust23THRUST_200600_302600_NS11hip_rocprim26transform_input_iterator_tIfNS8_17counting_iteratorIiNS8_11use_defaultESC_SC_EE11estimate_piEEPffNS8_4plusIfEEEE10hipError_tPvRmT1_T2_T3_mT4_P12ihipStream_tbEUlT_E0_NS1_11comp_targetILNS1_3genE10ELNS1_11target_archE1200ELNS1_3gpuE4ELNS1_3repE0EEENS1_30default_config_static_selectorELNS0_4arch9wavefront6targetE0EEEvSM_.has_dyn_sized_stack, 0
	.set _ZN7rocprim17ROCPRIM_400000_NS6detail17trampoline_kernelINS0_14default_configENS1_22reduce_config_selectorIfEEZNS1_11reduce_implILb1ES3_N6thrust23THRUST_200600_302600_NS11hip_rocprim26transform_input_iterator_tIfNS8_17counting_iteratorIiNS8_11use_defaultESC_SC_EE11estimate_piEEPffNS8_4plusIfEEEE10hipError_tPvRmT1_T2_T3_mT4_P12ihipStream_tbEUlT_E0_NS1_11comp_targetILNS1_3genE10ELNS1_11target_archE1200ELNS1_3gpuE4ELNS1_3repE0EEENS1_30default_config_static_selectorELNS0_4arch9wavefront6targetE0EEEvSM_.has_recursion, 0
	.set _ZN7rocprim17ROCPRIM_400000_NS6detail17trampoline_kernelINS0_14default_configENS1_22reduce_config_selectorIfEEZNS1_11reduce_implILb1ES3_N6thrust23THRUST_200600_302600_NS11hip_rocprim26transform_input_iterator_tIfNS8_17counting_iteratorIiNS8_11use_defaultESC_SC_EE11estimate_piEEPffNS8_4plusIfEEEE10hipError_tPvRmT1_T2_T3_mT4_P12ihipStream_tbEUlT_E0_NS1_11comp_targetILNS1_3genE10ELNS1_11target_archE1200ELNS1_3gpuE4ELNS1_3repE0EEENS1_30default_config_static_selectorELNS0_4arch9wavefront6targetE0EEEvSM_.has_indirect_call, 0
	.section	.AMDGPU.csdata,"",@progbits
; Kernel info:
; codeLenInByte = 0
; TotalNumSgprs: 0
; NumVgprs: 0
; ScratchSize: 0
; MemoryBound: 0
; FloatMode: 240
; IeeeMode: 1
; LDSByteSize: 0 bytes/workgroup (compile time only)
; SGPRBlocks: 0
; VGPRBlocks: 0
; NumSGPRsForWavesPerEU: 1
; NumVGPRsForWavesPerEU: 1
; Occupancy: 16
; WaveLimiterHint : 0
; COMPUTE_PGM_RSRC2:SCRATCH_EN: 0
; COMPUTE_PGM_RSRC2:USER_SGPR: 6
; COMPUTE_PGM_RSRC2:TRAP_HANDLER: 0
; COMPUTE_PGM_RSRC2:TGID_X_EN: 1
; COMPUTE_PGM_RSRC2:TGID_Y_EN: 0
; COMPUTE_PGM_RSRC2:TGID_Z_EN: 0
; COMPUTE_PGM_RSRC2:TIDIG_COMP_CNT: 0
	.section	.text._ZN7rocprim17ROCPRIM_400000_NS6detail17trampoline_kernelINS0_14default_configENS1_22reduce_config_selectorIfEEZNS1_11reduce_implILb1ES3_N6thrust23THRUST_200600_302600_NS11hip_rocprim26transform_input_iterator_tIfNS8_17counting_iteratorIiNS8_11use_defaultESC_SC_EE11estimate_piEEPffNS8_4plusIfEEEE10hipError_tPvRmT1_T2_T3_mT4_P12ihipStream_tbEUlT_E0_NS1_11comp_targetILNS1_3genE9ELNS1_11target_archE1100ELNS1_3gpuE3ELNS1_3repE0EEENS1_30default_config_static_selectorELNS0_4arch9wavefront6targetE0EEEvSM_,"axG",@progbits,_ZN7rocprim17ROCPRIM_400000_NS6detail17trampoline_kernelINS0_14default_configENS1_22reduce_config_selectorIfEEZNS1_11reduce_implILb1ES3_N6thrust23THRUST_200600_302600_NS11hip_rocprim26transform_input_iterator_tIfNS8_17counting_iteratorIiNS8_11use_defaultESC_SC_EE11estimate_piEEPffNS8_4plusIfEEEE10hipError_tPvRmT1_T2_T3_mT4_P12ihipStream_tbEUlT_E0_NS1_11comp_targetILNS1_3genE9ELNS1_11target_archE1100ELNS1_3gpuE3ELNS1_3repE0EEENS1_30default_config_static_selectorELNS0_4arch9wavefront6targetE0EEEvSM_,comdat
	.protected	_ZN7rocprim17ROCPRIM_400000_NS6detail17trampoline_kernelINS0_14default_configENS1_22reduce_config_selectorIfEEZNS1_11reduce_implILb1ES3_N6thrust23THRUST_200600_302600_NS11hip_rocprim26transform_input_iterator_tIfNS8_17counting_iteratorIiNS8_11use_defaultESC_SC_EE11estimate_piEEPffNS8_4plusIfEEEE10hipError_tPvRmT1_T2_T3_mT4_P12ihipStream_tbEUlT_E0_NS1_11comp_targetILNS1_3genE9ELNS1_11target_archE1100ELNS1_3gpuE3ELNS1_3repE0EEENS1_30default_config_static_selectorELNS0_4arch9wavefront6targetE0EEEvSM_ ; -- Begin function _ZN7rocprim17ROCPRIM_400000_NS6detail17trampoline_kernelINS0_14default_configENS1_22reduce_config_selectorIfEEZNS1_11reduce_implILb1ES3_N6thrust23THRUST_200600_302600_NS11hip_rocprim26transform_input_iterator_tIfNS8_17counting_iteratorIiNS8_11use_defaultESC_SC_EE11estimate_piEEPffNS8_4plusIfEEEE10hipError_tPvRmT1_T2_T3_mT4_P12ihipStream_tbEUlT_E0_NS1_11comp_targetILNS1_3genE9ELNS1_11target_archE1100ELNS1_3gpuE3ELNS1_3repE0EEENS1_30default_config_static_selectorELNS0_4arch9wavefront6targetE0EEEvSM_
	.globl	_ZN7rocprim17ROCPRIM_400000_NS6detail17trampoline_kernelINS0_14default_configENS1_22reduce_config_selectorIfEEZNS1_11reduce_implILb1ES3_N6thrust23THRUST_200600_302600_NS11hip_rocprim26transform_input_iterator_tIfNS8_17counting_iteratorIiNS8_11use_defaultESC_SC_EE11estimate_piEEPffNS8_4plusIfEEEE10hipError_tPvRmT1_T2_T3_mT4_P12ihipStream_tbEUlT_E0_NS1_11comp_targetILNS1_3genE9ELNS1_11target_archE1100ELNS1_3gpuE3ELNS1_3repE0EEENS1_30default_config_static_selectorELNS0_4arch9wavefront6targetE0EEEvSM_
	.p2align	8
	.type	_ZN7rocprim17ROCPRIM_400000_NS6detail17trampoline_kernelINS0_14default_configENS1_22reduce_config_selectorIfEEZNS1_11reduce_implILb1ES3_N6thrust23THRUST_200600_302600_NS11hip_rocprim26transform_input_iterator_tIfNS8_17counting_iteratorIiNS8_11use_defaultESC_SC_EE11estimate_piEEPffNS8_4plusIfEEEE10hipError_tPvRmT1_T2_T3_mT4_P12ihipStream_tbEUlT_E0_NS1_11comp_targetILNS1_3genE9ELNS1_11target_archE1100ELNS1_3gpuE3ELNS1_3repE0EEENS1_30default_config_static_selectorELNS0_4arch9wavefront6targetE0EEEvSM_,@function
_ZN7rocprim17ROCPRIM_400000_NS6detail17trampoline_kernelINS0_14default_configENS1_22reduce_config_selectorIfEEZNS1_11reduce_implILb1ES3_N6thrust23THRUST_200600_302600_NS11hip_rocprim26transform_input_iterator_tIfNS8_17counting_iteratorIiNS8_11use_defaultESC_SC_EE11estimate_piEEPffNS8_4plusIfEEEE10hipError_tPvRmT1_T2_T3_mT4_P12ihipStream_tbEUlT_E0_NS1_11comp_targetILNS1_3genE9ELNS1_11target_archE1100ELNS1_3gpuE3ELNS1_3repE0EEENS1_30default_config_static_selectorELNS0_4arch9wavefront6targetE0EEEvSM_: ; @_ZN7rocprim17ROCPRIM_400000_NS6detail17trampoline_kernelINS0_14default_configENS1_22reduce_config_selectorIfEEZNS1_11reduce_implILb1ES3_N6thrust23THRUST_200600_302600_NS11hip_rocprim26transform_input_iterator_tIfNS8_17counting_iteratorIiNS8_11use_defaultESC_SC_EE11estimate_piEEPffNS8_4plusIfEEEE10hipError_tPvRmT1_T2_T3_mT4_P12ihipStream_tbEUlT_E0_NS1_11comp_targetILNS1_3genE9ELNS1_11target_archE1100ELNS1_3gpuE3ELNS1_3repE0EEENS1_30default_config_static_selectorELNS0_4arch9wavefront6targetE0EEEvSM_
; %bb.0:
	.section	.rodata,"a",@progbits
	.p2align	6, 0x0
	.amdhsa_kernel _ZN7rocprim17ROCPRIM_400000_NS6detail17trampoline_kernelINS0_14default_configENS1_22reduce_config_selectorIfEEZNS1_11reduce_implILb1ES3_N6thrust23THRUST_200600_302600_NS11hip_rocprim26transform_input_iterator_tIfNS8_17counting_iteratorIiNS8_11use_defaultESC_SC_EE11estimate_piEEPffNS8_4plusIfEEEE10hipError_tPvRmT1_T2_T3_mT4_P12ihipStream_tbEUlT_E0_NS1_11comp_targetILNS1_3genE9ELNS1_11target_archE1100ELNS1_3gpuE3ELNS1_3repE0EEENS1_30default_config_static_selectorELNS0_4arch9wavefront6targetE0EEEvSM_
		.amdhsa_group_segment_fixed_size 0
		.amdhsa_private_segment_fixed_size 0
		.amdhsa_kernarg_size 56
		.amdhsa_user_sgpr_count 6
		.amdhsa_user_sgpr_private_segment_buffer 1
		.amdhsa_user_sgpr_dispatch_ptr 0
		.amdhsa_user_sgpr_queue_ptr 0
		.amdhsa_user_sgpr_kernarg_segment_ptr 1
		.amdhsa_user_sgpr_dispatch_id 0
		.amdhsa_user_sgpr_flat_scratch_init 0
		.amdhsa_user_sgpr_private_segment_size 0
		.amdhsa_wavefront_size32 1
		.amdhsa_uses_dynamic_stack 0
		.amdhsa_system_sgpr_private_segment_wavefront_offset 0
		.amdhsa_system_sgpr_workgroup_id_x 1
		.amdhsa_system_sgpr_workgroup_id_y 0
		.amdhsa_system_sgpr_workgroup_id_z 0
		.amdhsa_system_sgpr_workgroup_info 0
		.amdhsa_system_vgpr_workitem_id 0
		.amdhsa_next_free_vgpr 1
		.amdhsa_next_free_sgpr 1
		.amdhsa_reserve_vcc 0
		.amdhsa_reserve_flat_scratch 0
		.amdhsa_float_round_mode_32 0
		.amdhsa_float_round_mode_16_64 0
		.amdhsa_float_denorm_mode_32 3
		.amdhsa_float_denorm_mode_16_64 3
		.amdhsa_dx10_clamp 1
		.amdhsa_ieee_mode 1
		.amdhsa_fp16_overflow 0
		.amdhsa_workgroup_processor_mode 1
		.amdhsa_memory_ordered 1
		.amdhsa_forward_progress 1
		.amdhsa_shared_vgpr_count 0
		.amdhsa_exception_fp_ieee_invalid_op 0
		.amdhsa_exception_fp_denorm_src 0
		.amdhsa_exception_fp_ieee_div_zero 0
		.amdhsa_exception_fp_ieee_overflow 0
		.amdhsa_exception_fp_ieee_underflow 0
		.amdhsa_exception_fp_ieee_inexact 0
		.amdhsa_exception_int_div_zero 0
	.end_amdhsa_kernel
	.section	.text._ZN7rocprim17ROCPRIM_400000_NS6detail17trampoline_kernelINS0_14default_configENS1_22reduce_config_selectorIfEEZNS1_11reduce_implILb1ES3_N6thrust23THRUST_200600_302600_NS11hip_rocprim26transform_input_iterator_tIfNS8_17counting_iteratorIiNS8_11use_defaultESC_SC_EE11estimate_piEEPffNS8_4plusIfEEEE10hipError_tPvRmT1_T2_T3_mT4_P12ihipStream_tbEUlT_E0_NS1_11comp_targetILNS1_3genE9ELNS1_11target_archE1100ELNS1_3gpuE3ELNS1_3repE0EEENS1_30default_config_static_selectorELNS0_4arch9wavefront6targetE0EEEvSM_,"axG",@progbits,_ZN7rocprim17ROCPRIM_400000_NS6detail17trampoline_kernelINS0_14default_configENS1_22reduce_config_selectorIfEEZNS1_11reduce_implILb1ES3_N6thrust23THRUST_200600_302600_NS11hip_rocprim26transform_input_iterator_tIfNS8_17counting_iteratorIiNS8_11use_defaultESC_SC_EE11estimate_piEEPffNS8_4plusIfEEEE10hipError_tPvRmT1_T2_T3_mT4_P12ihipStream_tbEUlT_E0_NS1_11comp_targetILNS1_3genE9ELNS1_11target_archE1100ELNS1_3gpuE3ELNS1_3repE0EEENS1_30default_config_static_selectorELNS0_4arch9wavefront6targetE0EEEvSM_,comdat
.Lfunc_end25:
	.size	_ZN7rocprim17ROCPRIM_400000_NS6detail17trampoline_kernelINS0_14default_configENS1_22reduce_config_selectorIfEEZNS1_11reduce_implILb1ES3_N6thrust23THRUST_200600_302600_NS11hip_rocprim26transform_input_iterator_tIfNS8_17counting_iteratorIiNS8_11use_defaultESC_SC_EE11estimate_piEEPffNS8_4plusIfEEEE10hipError_tPvRmT1_T2_T3_mT4_P12ihipStream_tbEUlT_E0_NS1_11comp_targetILNS1_3genE9ELNS1_11target_archE1100ELNS1_3gpuE3ELNS1_3repE0EEENS1_30default_config_static_selectorELNS0_4arch9wavefront6targetE0EEEvSM_, .Lfunc_end25-_ZN7rocprim17ROCPRIM_400000_NS6detail17trampoline_kernelINS0_14default_configENS1_22reduce_config_selectorIfEEZNS1_11reduce_implILb1ES3_N6thrust23THRUST_200600_302600_NS11hip_rocprim26transform_input_iterator_tIfNS8_17counting_iteratorIiNS8_11use_defaultESC_SC_EE11estimate_piEEPffNS8_4plusIfEEEE10hipError_tPvRmT1_T2_T3_mT4_P12ihipStream_tbEUlT_E0_NS1_11comp_targetILNS1_3genE9ELNS1_11target_archE1100ELNS1_3gpuE3ELNS1_3repE0EEENS1_30default_config_static_selectorELNS0_4arch9wavefront6targetE0EEEvSM_
                                        ; -- End function
	.set _ZN7rocprim17ROCPRIM_400000_NS6detail17trampoline_kernelINS0_14default_configENS1_22reduce_config_selectorIfEEZNS1_11reduce_implILb1ES3_N6thrust23THRUST_200600_302600_NS11hip_rocprim26transform_input_iterator_tIfNS8_17counting_iteratorIiNS8_11use_defaultESC_SC_EE11estimate_piEEPffNS8_4plusIfEEEE10hipError_tPvRmT1_T2_T3_mT4_P12ihipStream_tbEUlT_E0_NS1_11comp_targetILNS1_3genE9ELNS1_11target_archE1100ELNS1_3gpuE3ELNS1_3repE0EEENS1_30default_config_static_selectorELNS0_4arch9wavefront6targetE0EEEvSM_.num_vgpr, 0
	.set _ZN7rocprim17ROCPRIM_400000_NS6detail17trampoline_kernelINS0_14default_configENS1_22reduce_config_selectorIfEEZNS1_11reduce_implILb1ES3_N6thrust23THRUST_200600_302600_NS11hip_rocprim26transform_input_iterator_tIfNS8_17counting_iteratorIiNS8_11use_defaultESC_SC_EE11estimate_piEEPffNS8_4plusIfEEEE10hipError_tPvRmT1_T2_T3_mT4_P12ihipStream_tbEUlT_E0_NS1_11comp_targetILNS1_3genE9ELNS1_11target_archE1100ELNS1_3gpuE3ELNS1_3repE0EEENS1_30default_config_static_selectorELNS0_4arch9wavefront6targetE0EEEvSM_.num_agpr, 0
	.set _ZN7rocprim17ROCPRIM_400000_NS6detail17trampoline_kernelINS0_14default_configENS1_22reduce_config_selectorIfEEZNS1_11reduce_implILb1ES3_N6thrust23THRUST_200600_302600_NS11hip_rocprim26transform_input_iterator_tIfNS8_17counting_iteratorIiNS8_11use_defaultESC_SC_EE11estimate_piEEPffNS8_4plusIfEEEE10hipError_tPvRmT1_T2_T3_mT4_P12ihipStream_tbEUlT_E0_NS1_11comp_targetILNS1_3genE9ELNS1_11target_archE1100ELNS1_3gpuE3ELNS1_3repE0EEENS1_30default_config_static_selectorELNS0_4arch9wavefront6targetE0EEEvSM_.numbered_sgpr, 0
	.set _ZN7rocprim17ROCPRIM_400000_NS6detail17trampoline_kernelINS0_14default_configENS1_22reduce_config_selectorIfEEZNS1_11reduce_implILb1ES3_N6thrust23THRUST_200600_302600_NS11hip_rocprim26transform_input_iterator_tIfNS8_17counting_iteratorIiNS8_11use_defaultESC_SC_EE11estimate_piEEPffNS8_4plusIfEEEE10hipError_tPvRmT1_T2_T3_mT4_P12ihipStream_tbEUlT_E0_NS1_11comp_targetILNS1_3genE9ELNS1_11target_archE1100ELNS1_3gpuE3ELNS1_3repE0EEENS1_30default_config_static_selectorELNS0_4arch9wavefront6targetE0EEEvSM_.num_named_barrier, 0
	.set _ZN7rocprim17ROCPRIM_400000_NS6detail17trampoline_kernelINS0_14default_configENS1_22reduce_config_selectorIfEEZNS1_11reduce_implILb1ES3_N6thrust23THRUST_200600_302600_NS11hip_rocprim26transform_input_iterator_tIfNS8_17counting_iteratorIiNS8_11use_defaultESC_SC_EE11estimate_piEEPffNS8_4plusIfEEEE10hipError_tPvRmT1_T2_T3_mT4_P12ihipStream_tbEUlT_E0_NS1_11comp_targetILNS1_3genE9ELNS1_11target_archE1100ELNS1_3gpuE3ELNS1_3repE0EEENS1_30default_config_static_selectorELNS0_4arch9wavefront6targetE0EEEvSM_.private_seg_size, 0
	.set _ZN7rocprim17ROCPRIM_400000_NS6detail17trampoline_kernelINS0_14default_configENS1_22reduce_config_selectorIfEEZNS1_11reduce_implILb1ES3_N6thrust23THRUST_200600_302600_NS11hip_rocprim26transform_input_iterator_tIfNS8_17counting_iteratorIiNS8_11use_defaultESC_SC_EE11estimate_piEEPffNS8_4plusIfEEEE10hipError_tPvRmT1_T2_T3_mT4_P12ihipStream_tbEUlT_E0_NS1_11comp_targetILNS1_3genE9ELNS1_11target_archE1100ELNS1_3gpuE3ELNS1_3repE0EEENS1_30default_config_static_selectorELNS0_4arch9wavefront6targetE0EEEvSM_.uses_vcc, 0
	.set _ZN7rocprim17ROCPRIM_400000_NS6detail17trampoline_kernelINS0_14default_configENS1_22reduce_config_selectorIfEEZNS1_11reduce_implILb1ES3_N6thrust23THRUST_200600_302600_NS11hip_rocprim26transform_input_iterator_tIfNS8_17counting_iteratorIiNS8_11use_defaultESC_SC_EE11estimate_piEEPffNS8_4plusIfEEEE10hipError_tPvRmT1_T2_T3_mT4_P12ihipStream_tbEUlT_E0_NS1_11comp_targetILNS1_3genE9ELNS1_11target_archE1100ELNS1_3gpuE3ELNS1_3repE0EEENS1_30default_config_static_selectorELNS0_4arch9wavefront6targetE0EEEvSM_.uses_flat_scratch, 0
	.set _ZN7rocprim17ROCPRIM_400000_NS6detail17trampoline_kernelINS0_14default_configENS1_22reduce_config_selectorIfEEZNS1_11reduce_implILb1ES3_N6thrust23THRUST_200600_302600_NS11hip_rocprim26transform_input_iterator_tIfNS8_17counting_iteratorIiNS8_11use_defaultESC_SC_EE11estimate_piEEPffNS8_4plusIfEEEE10hipError_tPvRmT1_T2_T3_mT4_P12ihipStream_tbEUlT_E0_NS1_11comp_targetILNS1_3genE9ELNS1_11target_archE1100ELNS1_3gpuE3ELNS1_3repE0EEENS1_30default_config_static_selectorELNS0_4arch9wavefront6targetE0EEEvSM_.has_dyn_sized_stack, 0
	.set _ZN7rocprim17ROCPRIM_400000_NS6detail17trampoline_kernelINS0_14default_configENS1_22reduce_config_selectorIfEEZNS1_11reduce_implILb1ES3_N6thrust23THRUST_200600_302600_NS11hip_rocprim26transform_input_iterator_tIfNS8_17counting_iteratorIiNS8_11use_defaultESC_SC_EE11estimate_piEEPffNS8_4plusIfEEEE10hipError_tPvRmT1_T2_T3_mT4_P12ihipStream_tbEUlT_E0_NS1_11comp_targetILNS1_3genE9ELNS1_11target_archE1100ELNS1_3gpuE3ELNS1_3repE0EEENS1_30default_config_static_selectorELNS0_4arch9wavefront6targetE0EEEvSM_.has_recursion, 0
	.set _ZN7rocprim17ROCPRIM_400000_NS6detail17trampoline_kernelINS0_14default_configENS1_22reduce_config_selectorIfEEZNS1_11reduce_implILb1ES3_N6thrust23THRUST_200600_302600_NS11hip_rocprim26transform_input_iterator_tIfNS8_17counting_iteratorIiNS8_11use_defaultESC_SC_EE11estimate_piEEPffNS8_4plusIfEEEE10hipError_tPvRmT1_T2_T3_mT4_P12ihipStream_tbEUlT_E0_NS1_11comp_targetILNS1_3genE9ELNS1_11target_archE1100ELNS1_3gpuE3ELNS1_3repE0EEENS1_30default_config_static_selectorELNS0_4arch9wavefront6targetE0EEEvSM_.has_indirect_call, 0
	.section	.AMDGPU.csdata,"",@progbits
; Kernel info:
; codeLenInByte = 0
; TotalNumSgprs: 0
; NumVgprs: 0
; ScratchSize: 0
; MemoryBound: 0
; FloatMode: 240
; IeeeMode: 1
; LDSByteSize: 0 bytes/workgroup (compile time only)
; SGPRBlocks: 0
; VGPRBlocks: 0
; NumSGPRsForWavesPerEU: 1
; NumVGPRsForWavesPerEU: 1
; Occupancy: 16
; WaveLimiterHint : 0
; COMPUTE_PGM_RSRC2:SCRATCH_EN: 0
; COMPUTE_PGM_RSRC2:USER_SGPR: 6
; COMPUTE_PGM_RSRC2:TRAP_HANDLER: 0
; COMPUTE_PGM_RSRC2:TGID_X_EN: 1
; COMPUTE_PGM_RSRC2:TGID_Y_EN: 0
; COMPUTE_PGM_RSRC2:TGID_Z_EN: 0
; COMPUTE_PGM_RSRC2:TIDIG_COMP_CNT: 0
	.section	.text._ZN7rocprim17ROCPRIM_400000_NS6detail17trampoline_kernelINS0_14default_configENS1_22reduce_config_selectorIfEEZNS1_11reduce_implILb1ES3_N6thrust23THRUST_200600_302600_NS11hip_rocprim26transform_input_iterator_tIfNS8_17counting_iteratorIiNS8_11use_defaultESC_SC_EE11estimate_piEEPffNS8_4plusIfEEEE10hipError_tPvRmT1_T2_T3_mT4_P12ihipStream_tbEUlT_E0_NS1_11comp_targetILNS1_3genE8ELNS1_11target_archE1030ELNS1_3gpuE2ELNS1_3repE0EEENS1_30default_config_static_selectorELNS0_4arch9wavefront6targetE0EEEvSM_,"axG",@progbits,_ZN7rocprim17ROCPRIM_400000_NS6detail17trampoline_kernelINS0_14default_configENS1_22reduce_config_selectorIfEEZNS1_11reduce_implILb1ES3_N6thrust23THRUST_200600_302600_NS11hip_rocprim26transform_input_iterator_tIfNS8_17counting_iteratorIiNS8_11use_defaultESC_SC_EE11estimate_piEEPffNS8_4plusIfEEEE10hipError_tPvRmT1_T2_T3_mT4_P12ihipStream_tbEUlT_E0_NS1_11comp_targetILNS1_3genE8ELNS1_11target_archE1030ELNS1_3gpuE2ELNS1_3repE0EEENS1_30default_config_static_selectorELNS0_4arch9wavefront6targetE0EEEvSM_,comdat
	.protected	_ZN7rocprim17ROCPRIM_400000_NS6detail17trampoline_kernelINS0_14default_configENS1_22reduce_config_selectorIfEEZNS1_11reduce_implILb1ES3_N6thrust23THRUST_200600_302600_NS11hip_rocprim26transform_input_iterator_tIfNS8_17counting_iteratorIiNS8_11use_defaultESC_SC_EE11estimate_piEEPffNS8_4plusIfEEEE10hipError_tPvRmT1_T2_T3_mT4_P12ihipStream_tbEUlT_E0_NS1_11comp_targetILNS1_3genE8ELNS1_11target_archE1030ELNS1_3gpuE2ELNS1_3repE0EEENS1_30default_config_static_selectorELNS0_4arch9wavefront6targetE0EEEvSM_ ; -- Begin function _ZN7rocprim17ROCPRIM_400000_NS6detail17trampoline_kernelINS0_14default_configENS1_22reduce_config_selectorIfEEZNS1_11reduce_implILb1ES3_N6thrust23THRUST_200600_302600_NS11hip_rocprim26transform_input_iterator_tIfNS8_17counting_iteratorIiNS8_11use_defaultESC_SC_EE11estimate_piEEPffNS8_4plusIfEEEE10hipError_tPvRmT1_T2_T3_mT4_P12ihipStream_tbEUlT_E0_NS1_11comp_targetILNS1_3genE8ELNS1_11target_archE1030ELNS1_3gpuE2ELNS1_3repE0EEENS1_30default_config_static_selectorELNS0_4arch9wavefront6targetE0EEEvSM_
	.globl	_ZN7rocprim17ROCPRIM_400000_NS6detail17trampoline_kernelINS0_14default_configENS1_22reduce_config_selectorIfEEZNS1_11reduce_implILb1ES3_N6thrust23THRUST_200600_302600_NS11hip_rocprim26transform_input_iterator_tIfNS8_17counting_iteratorIiNS8_11use_defaultESC_SC_EE11estimate_piEEPffNS8_4plusIfEEEE10hipError_tPvRmT1_T2_T3_mT4_P12ihipStream_tbEUlT_E0_NS1_11comp_targetILNS1_3genE8ELNS1_11target_archE1030ELNS1_3gpuE2ELNS1_3repE0EEENS1_30default_config_static_selectorELNS0_4arch9wavefront6targetE0EEEvSM_
	.p2align	8
	.type	_ZN7rocprim17ROCPRIM_400000_NS6detail17trampoline_kernelINS0_14default_configENS1_22reduce_config_selectorIfEEZNS1_11reduce_implILb1ES3_N6thrust23THRUST_200600_302600_NS11hip_rocprim26transform_input_iterator_tIfNS8_17counting_iteratorIiNS8_11use_defaultESC_SC_EE11estimate_piEEPffNS8_4plusIfEEEE10hipError_tPvRmT1_T2_T3_mT4_P12ihipStream_tbEUlT_E0_NS1_11comp_targetILNS1_3genE8ELNS1_11target_archE1030ELNS1_3gpuE2ELNS1_3repE0EEENS1_30default_config_static_selectorELNS0_4arch9wavefront6targetE0EEEvSM_,@function
_ZN7rocprim17ROCPRIM_400000_NS6detail17trampoline_kernelINS0_14default_configENS1_22reduce_config_selectorIfEEZNS1_11reduce_implILb1ES3_N6thrust23THRUST_200600_302600_NS11hip_rocprim26transform_input_iterator_tIfNS8_17counting_iteratorIiNS8_11use_defaultESC_SC_EE11estimate_piEEPffNS8_4plusIfEEEE10hipError_tPvRmT1_T2_T3_mT4_P12ihipStream_tbEUlT_E0_NS1_11comp_targetILNS1_3genE8ELNS1_11target_archE1030ELNS1_3gpuE2ELNS1_3repE0EEENS1_30default_config_static_selectorELNS0_4arch9wavefront6targetE0EEEvSM_: ; @_ZN7rocprim17ROCPRIM_400000_NS6detail17trampoline_kernelINS0_14default_configENS1_22reduce_config_selectorIfEEZNS1_11reduce_implILb1ES3_N6thrust23THRUST_200600_302600_NS11hip_rocprim26transform_input_iterator_tIfNS8_17counting_iteratorIiNS8_11use_defaultESC_SC_EE11estimate_piEEPffNS8_4plusIfEEEE10hipError_tPvRmT1_T2_T3_mT4_P12ihipStream_tbEUlT_E0_NS1_11comp_targetILNS1_3genE8ELNS1_11target_archE1030ELNS1_3gpuE2ELNS1_3repE0EEENS1_30default_config_static_selectorELNS0_4arch9wavefront6targetE0EEEvSM_
; %bb.0:
	s_clause 0x2
	s_load_dword s0, s[4:5], 0x0
	s_load_dwordx8 s[8:15], s[4:5], 0x8
	s_load_dwordx2 s[16:17], s[4:5], 0x28
	s_lshl_b32 s3, s6, 9
	s_mov_b32 s7, 0
	s_waitcnt lgkmcnt(0)
	s_add_i32 s2, s0, s3
	s_lshr_b64 s[0:1], s[10:11], 9
	s_add_i32 s2, s2, s8
	s_cmp_lg_u64 s[0:1], s[6:7]
	s_cbranch_scc0 .LBB26_10
; %bb.1:
	v_add_nc_u32_e32 v2, s2, v0
	s_movk_i32 s8, 0x2710
	v_lshlrev_b32_e32 v1, 12, v2
	v_add3_u32 v1, v2, v1, 0x7ed55d16
	v_lshrrev_b32_e32 v3, 19, v1
	v_xor3_b32 v1, v1, v3, 0xc761c23c
	v_lshl_add_u32 v1, v1, 5, v1
	v_add_nc_u32_e32 v3, 0xe9f8cc1d, v1
	v_lshl_add_u32 v1, v1, 9, 0xaccf6200
	v_xor_b32_e32 v1, v3, v1
	v_lshlrev_b32_e32 v3, 3, v1
	v_add3_u32 v1, v1, v3, 0xfd7046c5
	v_lshrrev_b32_e32 v3, 16, v1
	v_xor3_b32 v1, v1, v3, 0xb55a4f09
	v_mul_hi_u32 v3, v1, 3
	v_sub_nc_u32_e32 v4, v1, v3
	v_lshrrev_b32_e32 v4, 1, v4
	v_add_nc_u32_e32 v3, v4, v3
	v_lshrrev_b32_e32 v3, 30, v3
	v_mul_lo_u32 v3, 0x7fffffff, v3
	v_sub_nc_u32_e32 v1, v1, v3
	v_max_u32_e32 v3, 1, v1
	v_mov_b32_e32 v1, 0
.LBB26_2:                               ; =>This Inner Loop Header: Depth=1
	v_mul_hi_u32 v4, 0xbc8f1391, v3
	s_add_i32 s8, s8, -2
	s_cmp_lg_u32 s8, 0
	v_lshrrev_b32_e32 v4, 15, v4
	v_mul_u32_u24_e32 v5, 0xadc8, v4
	v_mul_u32_u24_e32 v4, 0xd47, v4
	v_sub_nc_u32_e32 v3, v3, v5
	v_xor_b32_e32 v5, 0x7fffffff, v4
	v_sub_nc_u32_e32 v6, 0, v4
	v_mul_lo_u32 v3, 0xbc8f, v3
	v_cmp_lt_u32_e32 vcc_lo, v3, v4
	v_cndmask_b32_e32 v4, v6, v5, vcc_lo
	v_add_nc_u32_e32 v3, v4, v3
	v_mul_hi_u32 v4, 0xbc8f1391, v3
	v_lshrrev_b32_e32 v4, 15, v4
	v_mul_u32_u24_e32 v5, 0xadc8, v4
	v_mul_u32_u24_e32 v4, 0xd47, v4
	v_sub_nc_u32_e32 v5, v3, v5
	v_xor_b32_e32 v6, 0x7fffffff, v4
	v_sub_nc_u32_e32 v7, 0, v4
	v_add_nc_u32_e32 v3, -1, v3
	v_mul_lo_u32 v5, 0xbc8f, v5
	v_cvt_f32_u32_e32 v3, v3
	v_cmp_lt_u32_e32 vcc_lo, v5, v4
	v_cndmask_b32_e32 v4, v7, v6, vcc_lo
	v_add_nc_u32_e32 v4, v4, v5
	v_mul_hi_u32 v5, 0xbc8f1391, v4
	v_lshrrev_b32_e32 v5, 15, v5
	v_mul_u32_u24_e32 v6, 0xadc8, v5
	v_mul_u32_u24_e32 v5, 0xd47, v5
	v_sub_nc_u32_e32 v6, v4, v6
	v_xor_b32_e32 v7, 0x7fffffff, v5
	v_sub_nc_u32_e32 v8, 0, v5
	v_add_nc_u32_e32 v4, -1, v4
	v_mul_lo_u32 v6, 0xbc8f, v6
	v_cvt_f32_u32_e32 v4, v4
	v_fma_f32 v4, 0x30000000, v4, 0
	v_cmp_lt_u32_e32 vcc_lo, v6, v5
	v_mul_f32_e32 v4, v4, v4
	v_cndmask_b32_e32 v5, v8, v7, vcc_lo
	v_fma_f32 v7, 0x30000000, v3, 0
	v_add_nc_u32_e32 v5, v5, v6
	v_fmac_f32_e32 v4, v7, v7
	v_mul_hi_u32 v6, 0xbc8f1391, v5
	v_mul_f32_e32 v7, 0x4f800000, v4
	v_lshrrev_b32_e32 v3, 15, v6
	v_mul_u32_u24_e32 v6, 0xadc8, v3
	v_mul_u32_u24_e32 v3, 0xd47, v3
	v_sub_nc_u32_e32 v6, v5, v6
	v_xor_b32_e32 v8, 0x7fffffff, v3
	v_sub_nc_u32_e32 v9, 0, v3
	v_add_nc_u32_e32 v5, -1, v5
	v_mul_lo_u32 v6, 0xbc8f, v6
	v_cvt_f32_u32_e32 v5, v5
	v_fma_f32 v5, 0x30000000, v5, 0
	v_cmp_lt_u32_e32 vcc_lo, v6, v3
	v_cndmask_b32_e32 v3, v9, v8, vcc_lo
	v_cmp_gt_f32_e32 vcc_lo, 0xf800000, v4
	v_add_f32_e32 v8, 1.0, v1
	v_add_nc_u32_e32 v3, v3, v6
	v_cndmask_b32_e32 v4, v4, v7, vcc_lo
	v_add_nc_u32_e32 v6, -1, v3
	v_cvt_f32_u32_e32 v6, v6
	v_fma_f32 v6, 0x30000000, v6, 0
	v_mul_f32_e32 v6, v6, v6
	v_fmac_f32_e32 v6, v5, v5
	v_sqrt_f32_e32 v5, v4
	v_mul_f32_e32 v7, 0x4f800000, v6
	v_cmp_gt_f32_e64 s0, 0xf800000, v6
	v_cndmask_b32_e64 v6, v6, v7, s0
	v_add_nc_u32_e32 v7, -1, v5
	v_add_nc_u32_e32 v9, 1, v5
	v_sqrt_f32_e32 v10, v6
	v_fma_f32 v11, -v7, v5, v4
	v_fma_f32 v12, -v9, v5, v4
	v_cmp_ge_f32_e64 s1, 0, v11
	v_cndmask_b32_e64 v5, v5, v7, s1
	v_cmp_lt_f32_e64 s1, 0, v12
	v_add_nc_u32_e32 v7, -1, v10
	v_cndmask_b32_e64 v5, v5, v9, s1
	v_add_nc_u32_e32 v9, 1, v10
	v_fma_f32 v11, -v7, v10, v6
	v_mul_f32_e32 v12, 0x37800000, v5
	v_fma_f32 v13, -v9, v10, v6
	v_cmp_ge_f32_e64 s1, 0, v11
	v_cndmask_b32_e32 v5, v5, v12, vcc_lo
	v_cmp_class_f32_e64 vcc_lo, v4, 0x260
	v_cndmask_b32_e64 v7, v10, v7, s1
	v_cmp_lt_f32_e64 s1, 0, v13
	v_cndmask_b32_e32 v4, v5, v4, vcc_lo
	v_cndmask_b32_e64 v7, v7, v9, s1
	v_cmp_nge_f32_e32 vcc_lo, 1.0, v4
	v_mul_f32_e32 v5, 0x37800000, v7
	v_cndmask_b32_e32 v1, v8, v1, vcc_lo
	v_cmp_class_f32_e64 vcc_lo, v6, 0x260
	v_cndmask_b32_e64 v4, v7, v5, s0
	v_add_f32_e32 v5, 1.0, v1
	v_cndmask_b32_e32 v4, v4, v6, vcc_lo
	v_cmp_nge_f32_e32 vcc_lo, 1.0, v4
	v_cndmask_b32_e32 v1, v5, v1, vcc_lo
	s_cbranch_scc1 .LBB26_2
; %bb.3:
	s_movk_i32 s0, 0x1001
	s_movk_i32 s8, 0x2710
	v_mad_u64_u32 v[2:3], null, v2, s0, 0x7ee55e16
	v_lshrrev_b32_e32 v3, 19, v2
	v_xor3_b32 v2, v2, v3, 0xc761c23c
	v_lshl_add_u32 v2, v2, 5, v2
	v_add_nc_u32_e32 v3, 0xe9f8cc1d, v2
	v_lshl_add_u32 v2, v2, 9, 0xaccf6200
	v_xor_b32_e32 v2, v3, v2
	v_lshlrev_b32_e32 v3, 3, v2
	v_add3_u32 v2, v2, v3, 0xfd7046c5
	v_lshrrev_b32_e32 v3, 16, v2
	v_xor3_b32 v2, v2, v3, 0xb55a4f09
	v_mul_hi_u32 v3, v2, 3
	v_sub_nc_u32_e32 v4, v2, v3
	v_lshrrev_b32_e32 v4, 1, v4
	v_add_nc_u32_e32 v3, v4, v3
	v_lshrrev_b32_e32 v3, 30, v3
	v_mul_lo_u32 v3, 0x7fffffff, v3
	v_sub_nc_u32_e32 v2, v2, v3
	v_max_u32_e32 v3, 1, v2
	v_mov_b32_e32 v2, 0
.LBB26_4:                               ; =>This Inner Loop Header: Depth=1
	v_mul_hi_u32 v4, 0xbc8f1391, v3
	s_add_i32 s8, s8, -2
	s_cmp_lg_u32 s8, 0
	v_lshrrev_b32_e32 v4, 15, v4
	v_mul_u32_u24_e32 v5, 0xadc8, v4
	v_mul_u32_u24_e32 v4, 0xd47, v4
	v_sub_nc_u32_e32 v3, v3, v5
	v_xor_b32_e32 v5, 0x7fffffff, v4
	v_sub_nc_u32_e32 v6, 0, v4
	v_mul_lo_u32 v3, 0xbc8f, v3
	v_cmp_lt_u32_e32 vcc_lo, v3, v4
	v_cndmask_b32_e32 v4, v6, v5, vcc_lo
	v_add_nc_u32_e32 v3, v4, v3
	v_mul_hi_u32 v4, 0xbc8f1391, v3
	v_lshrrev_b32_e32 v4, 15, v4
	v_mul_u32_u24_e32 v5, 0xadc8, v4
	v_mul_u32_u24_e32 v4, 0xd47, v4
	v_sub_nc_u32_e32 v5, v3, v5
	v_xor_b32_e32 v6, 0x7fffffff, v4
	v_sub_nc_u32_e32 v7, 0, v4
	v_add_nc_u32_e32 v3, -1, v3
	v_mul_lo_u32 v5, 0xbc8f, v5
	v_cvt_f32_u32_e32 v3, v3
	v_cmp_lt_u32_e32 vcc_lo, v5, v4
	v_cndmask_b32_e32 v4, v7, v6, vcc_lo
	v_add_nc_u32_e32 v4, v4, v5
	v_mul_hi_u32 v5, 0xbc8f1391, v4
	v_lshrrev_b32_e32 v5, 15, v5
	v_mul_u32_u24_e32 v6, 0xadc8, v5
	v_mul_u32_u24_e32 v5, 0xd47, v5
	v_sub_nc_u32_e32 v6, v4, v6
	v_xor_b32_e32 v7, 0x7fffffff, v5
	v_sub_nc_u32_e32 v8, 0, v5
	v_add_nc_u32_e32 v4, -1, v4
	v_mul_lo_u32 v6, 0xbc8f, v6
	v_cvt_f32_u32_e32 v4, v4
	v_fma_f32 v4, 0x30000000, v4, 0
	v_cmp_lt_u32_e32 vcc_lo, v6, v5
	v_mul_f32_e32 v4, v4, v4
	v_cndmask_b32_e32 v5, v8, v7, vcc_lo
	v_fma_f32 v7, 0x30000000, v3, 0
	v_add_nc_u32_e32 v5, v5, v6
	v_fmac_f32_e32 v4, v7, v7
	v_mul_hi_u32 v6, 0xbc8f1391, v5
	v_mul_f32_e32 v7, 0x4f800000, v4
	v_lshrrev_b32_e32 v3, 15, v6
	v_mul_u32_u24_e32 v6, 0xadc8, v3
	v_mul_u32_u24_e32 v3, 0xd47, v3
	v_sub_nc_u32_e32 v6, v5, v6
	v_xor_b32_e32 v8, 0x7fffffff, v3
	v_sub_nc_u32_e32 v9, 0, v3
	v_add_nc_u32_e32 v5, -1, v5
	v_mul_lo_u32 v6, 0xbc8f, v6
	v_cvt_f32_u32_e32 v5, v5
	v_fma_f32 v5, 0x30000000, v5, 0
	v_cmp_lt_u32_e32 vcc_lo, v6, v3
	v_cndmask_b32_e32 v3, v9, v8, vcc_lo
	v_cmp_gt_f32_e32 vcc_lo, 0xf800000, v4
	v_add_f32_e32 v8, 1.0, v2
	v_add_nc_u32_e32 v3, v3, v6
	v_cndmask_b32_e32 v4, v4, v7, vcc_lo
	v_add_nc_u32_e32 v6, -1, v3
	v_cvt_f32_u32_e32 v6, v6
	v_fma_f32 v6, 0x30000000, v6, 0
	v_mul_f32_e32 v6, v6, v6
	v_fmac_f32_e32 v6, v5, v5
	v_sqrt_f32_e32 v5, v4
	v_mul_f32_e32 v7, 0x4f800000, v6
	v_cmp_gt_f32_e64 s0, 0xf800000, v6
	v_cndmask_b32_e64 v6, v6, v7, s0
	v_add_nc_u32_e32 v7, -1, v5
	v_add_nc_u32_e32 v9, 1, v5
	v_sqrt_f32_e32 v10, v6
	v_fma_f32 v11, -v7, v5, v4
	v_fma_f32 v12, -v9, v5, v4
	v_cmp_ge_f32_e64 s1, 0, v11
	v_cndmask_b32_e64 v5, v5, v7, s1
	v_cmp_lt_f32_e64 s1, 0, v12
	v_add_nc_u32_e32 v7, -1, v10
	v_cndmask_b32_e64 v5, v5, v9, s1
	v_add_nc_u32_e32 v9, 1, v10
	v_fma_f32 v11, -v7, v10, v6
	v_mul_f32_e32 v12, 0x37800000, v5
	v_fma_f32 v13, -v9, v10, v6
	v_cmp_ge_f32_e64 s1, 0, v11
	v_cndmask_b32_e32 v5, v5, v12, vcc_lo
	v_cmp_class_f32_e64 vcc_lo, v4, 0x260
	v_cndmask_b32_e64 v7, v10, v7, s1
	v_cmp_lt_f32_e64 s1, 0, v13
	v_cndmask_b32_e32 v4, v5, v4, vcc_lo
	v_cndmask_b32_e64 v7, v7, v9, s1
	v_cmp_nge_f32_e32 vcc_lo, 1.0, v4
	v_mul_f32_e32 v5, 0x37800000, v7
	v_cndmask_b32_e32 v2, v8, v2, vcc_lo
	v_cmp_class_f32_e64 vcc_lo, v6, 0x260
	v_cndmask_b32_e64 v4, v7, v5, s0
	v_add_f32_e32 v5, 1.0, v2
	v_cndmask_b32_e32 v4, v4, v6, vcc_lo
	v_cmp_nge_f32_e32 vcc_lo, 1.0, v4
	v_cndmask_b32_e32 v2, v5, v2, vcc_lo
	s_cbranch_scc1 .LBB26_4
; %bb.5:
	v_mul_f32_e32 v1, 4.0, v1
	v_mul_f32_e32 v2, 4.0, v2
	v_div_scale_f32 v3, null, 0x461c4000, 0x461c4000, v1
	v_div_scale_f32 v4, null, 0x461c4000, 0x461c4000, v2
	v_div_scale_f32 v9, vcc_lo, v1, 0x461c4000, v1
	v_rcp_f32_e32 v5, v3
	v_rcp_f32_e32 v6, v4
	v_fma_f32 v7, -v3, v5, 1.0
	v_fma_f32 v8, -v4, v6, 1.0
	v_fmac_f32_e32 v5, v7, v5
	v_div_scale_f32 v7, s0, v2, 0x461c4000, v2
	v_fmac_f32_e32 v6, v8, v6
	v_mul_f32_e32 v8, v9, v5
	v_mul_f32_e32 v10, v7, v6
	v_fma_f32 v11, -v3, v8, v9
	v_fma_f32 v12, -v4, v10, v7
	v_fmac_f32_e32 v8, v11, v5
	v_fmac_f32_e32 v10, v12, v6
	v_fma_f32 v3, -v3, v8, v9
	v_fma_f32 v4, -v4, v10, v7
	v_div_fmas_f32 v3, v3, v5, v8
	s_mov_b32 vcc_lo, s0
	s_mov_b32 s0, exec_lo
	v_div_fmas_f32 v4, v4, v6, v10
	v_div_fixup_f32 v1, v3, 0x461c4000, v1
	v_div_fixup_f32 v2, v4, 0x461c4000, v2
	v_add_f32_e32 v1, v1, v2
	v_mov_b32_dpp v2, v1 quad_perm:[1,0,3,2] row_mask:0xf bank_mask:0xf
	v_add_f32_e32 v1, v1, v2
	v_mov_b32_dpp v2, v1 quad_perm:[2,3,0,1] row_mask:0xf bank_mask:0xf
	v_add_f32_e32 v1, v1, v2
	v_mov_b32_dpp v2, v1 row_ror:4 row_mask:0xf bank_mask:0xf
	v_add_f32_e32 v1, v1, v2
	v_mov_b32_dpp v2, v1 row_ror:8 row_mask:0xf bank_mask:0xf
	v_add_f32_e32 v1, v1, v2
	ds_swizzle_b32 v2, v1 offset:swizzle(BROADCAST,32,15)
	s_waitcnt lgkmcnt(0)
	v_add_f32_e32 v1, v1, v2
	v_mov_b32_e32 v2, 0
	ds_bpermute_b32 v1, v2, v1 offset:124
	v_mbcnt_lo_u32_b32 v2, -1, 0
	v_cmpx_eq_u32_e32 0, v2
	s_cbranch_execz .LBB26_7
; %bb.6:
	v_lshrrev_b32_e32 v3, 3, v0
	v_and_b32_e32 v3, 28, v3
	s_waitcnt lgkmcnt(0)
	ds_write_b32 v3, v1
.LBB26_7:
	s_or_b32 exec_lo, exec_lo, s0
	s_mov_b32 s0, exec_lo
	s_waitcnt lgkmcnt(0)
	s_barrier
	buffer_gl0_inv
	v_cmpx_gt_u32_e32 32, v0
	s_cbranch_execz .LBB26_9
; %bb.8:
	v_and_b32_e32 v1, 7, v2
	v_lshlrev_b32_e32 v3, 2, v1
	v_cmp_ne_u32_e32 vcc_lo, 7, v1
	ds_read_b32 v3, v3
	v_add_co_ci_u32_e64 v4, null, 0, v2, vcc_lo
	v_cmp_gt_u32_e32 vcc_lo, 6, v1
	v_lshlrev_b32_e32 v4, 2, v4
	v_cndmask_b32_e64 v1, 0, 2, vcc_lo
	v_add_lshl_u32 v1, v1, v2, 2
	v_lshlrev_b32_e32 v2, 2, v2
	v_or_b32_e32 v2, 16, v2
	s_waitcnt lgkmcnt(0)
	ds_bpermute_b32 v4, v4, v3
	s_waitcnt lgkmcnt(0)
	v_add_f32_e32 v3, v3, v4
	ds_bpermute_b32 v1, v1, v3
	s_waitcnt lgkmcnt(0)
	v_add_f32_e32 v1, v3, v1
	;; [unrolled: 3-line block ×3, first 2 shown]
.LBB26_9:
	s_or_b32 exec_lo, exec_lo, s0
	s_branch .LBB26_24
.LBB26_10:
                                        ; implicit-def: $vgpr1
	s_cbranch_execz .LBB26_24
; %bb.11:
	v_mov_b32_e32 v1, 0
	s_sub_i32 s3, s10, s3
	s_mov_b32 s8, exec_lo
	v_mov_b32_e32 v3, v1
	v_cmpx_gt_u32_e64 s3, v0
	s_cbranch_execz .LBB26_15
; %bb.12:
	v_add_nc_u32_e32 v2, s2, v0
	s_movk_i32 s9, 0x2710
	v_lshlrev_b32_e32 v3, 12, v2
	v_add3_u32 v2, v2, v3, 0x7ed55d16
	v_lshrrev_b32_e32 v3, 19, v2
	v_xor3_b32 v2, v2, v3, 0xc761c23c
	v_lshl_add_u32 v2, v2, 5, v2
	v_add_nc_u32_e32 v3, 0xe9f8cc1d, v2
	v_lshl_add_u32 v2, v2, 9, 0xaccf6200
	v_xor_b32_e32 v2, v3, v2
	v_lshlrev_b32_e32 v3, 3, v2
	v_add3_u32 v2, v2, v3, 0xfd7046c5
	v_lshrrev_b32_e32 v3, 16, v2
	v_xor3_b32 v2, v2, v3, 0xb55a4f09
	v_mul_hi_u32 v3, v2, 3
	v_sub_nc_u32_e32 v4, v2, v3
	v_lshrrev_b32_e32 v4, 1, v4
	v_add_nc_u32_e32 v3, v4, v3
	v_lshrrev_b32_e32 v3, 30, v3
	v_mul_lo_u32 v3, 0x7fffffff, v3
	v_sub_nc_u32_e32 v2, v2, v3
	v_max_u32_e32 v2, 1, v2
.LBB26_13:                              ; =>This Inner Loop Header: Depth=1
	v_mul_hi_u32 v3, 0xbc8f1391, v2
	s_add_i32 s9, s9, -2
	s_cmp_lg_u32 s9, 0
	v_lshrrev_b32_e32 v3, 15, v3
	v_mul_u32_u24_e32 v4, 0xadc8, v3
	v_mul_u32_u24_e32 v3, 0xd47, v3
	v_sub_nc_u32_e32 v2, v2, v4
	v_xor_b32_e32 v4, 0x7fffffff, v3
	v_sub_nc_u32_e32 v5, 0, v3
	v_mul_lo_u32 v2, 0xbc8f, v2
	v_cmp_lt_u32_e32 vcc_lo, v2, v3
	v_cndmask_b32_e32 v3, v5, v4, vcc_lo
	v_add_nc_u32_e32 v2, v3, v2
	v_mul_hi_u32 v3, 0xbc8f1391, v2
	v_lshrrev_b32_e32 v3, 15, v3
	v_mul_u32_u24_e32 v4, 0xadc8, v3
	v_mul_u32_u24_e32 v3, 0xd47, v3
	v_sub_nc_u32_e32 v4, v2, v4
	v_xor_b32_e32 v5, 0x7fffffff, v3
	v_sub_nc_u32_e32 v6, 0, v3
	v_add_nc_u32_e32 v2, -1, v2
	v_mul_lo_u32 v4, 0xbc8f, v4
	v_cvt_f32_u32_e32 v2, v2
	v_cmp_lt_u32_e32 vcc_lo, v4, v3
	v_cndmask_b32_e32 v3, v6, v5, vcc_lo
	v_add_nc_u32_e32 v3, v3, v4
	v_mul_hi_u32 v4, 0xbc8f1391, v3
	v_lshrrev_b32_e32 v4, 15, v4
	v_mul_u32_u24_e32 v5, 0xadc8, v4
	v_mul_u32_u24_e32 v4, 0xd47, v4
	v_sub_nc_u32_e32 v5, v3, v5
	v_xor_b32_e32 v6, 0x7fffffff, v4
	v_sub_nc_u32_e32 v7, 0, v4
	v_add_nc_u32_e32 v3, -1, v3
	v_mul_lo_u32 v5, 0xbc8f, v5
	v_cvt_f32_u32_e32 v3, v3
	v_fma_f32 v3, 0x30000000, v3, 0
	v_cmp_lt_u32_e32 vcc_lo, v5, v4
	v_mul_f32_e32 v3, v3, v3
	v_cndmask_b32_e32 v4, v7, v6, vcc_lo
	v_fma_f32 v6, 0x30000000, v2, 0
	v_add_nc_u32_e32 v4, v4, v5
	v_fmac_f32_e32 v3, v6, v6
	v_mul_hi_u32 v5, 0xbc8f1391, v4
	v_mul_f32_e32 v6, 0x4f800000, v3
	v_lshrrev_b32_e32 v2, 15, v5
	v_mul_u32_u24_e32 v5, 0xadc8, v2
	v_mul_u32_u24_e32 v2, 0xd47, v2
	v_sub_nc_u32_e32 v5, v4, v5
	v_xor_b32_e32 v7, 0x7fffffff, v2
	v_sub_nc_u32_e32 v8, 0, v2
	v_add_nc_u32_e32 v4, -1, v4
	v_mul_lo_u32 v5, 0xbc8f, v5
	v_cvt_f32_u32_e32 v4, v4
	v_fma_f32 v4, 0x30000000, v4, 0
	v_cmp_lt_u32_e32 vcc_lo, v5, v2
	v_cndmask_b32_e32 v2, v8, v7, vcc_lo
	v_cmp_gt_f32_e32 vcc_lo, 0xf800000, v3
	v_add_f32_e32 v7, 1.0, v1
	v_add_nc_u32_e32 v2, v2, v5
	v_cndmask_b32_e32 v3, v3, v6, vcc_lo
	v_add_nc_u32_e32 v5, -1, v2
	v_cvt_f32_u32_e32 v5, v5
	v_fma_f32 v5, 0x30000000, v5, 0
	v_mul_f32_e32 v5, v5, v5
	v_fmac_f32_e32 v5, v4, v4
	v_sqrt_f32_e32 v4, v3
	v_mul_f32_e32 v6, 0x4f800000, v5
	v_cmp_gt_f32_e64 s0, 0xf800000, v5
	v_cndmask_b32_e64 v5, v5, v6, s0
	v_add_nc_u32_e32 v6, -1, v4
	v_add_nc_u32_e32 v8, 1, v4
	v_sqrt_f32_e32 v9, v5
	v_fma_f32 v10, -v6, v4, v3
	v_fma_f32 v11, -v8, v4, v3
	v_cmp_ge_f32_e64 s1, 0, v10
	v_cndmask_b32_e64 v4, v4, v6, s1
	v_cmp_lt_f32_e64 s1, 0, v11
	v_add_nc_u32_e32 v6, -1, v9
	v_cndmask_b32_e64 v4, v4, v8, s1
	v_add_nc_u32_e32 v8, 1, v9
	v_fma_f32 v10, -v6, v9, v5
	v_mul_f32_e32 v11, 0x37800000, v4
	v_fma_f32 v12, -v8, v9, v5
	v_cmp_ge_f32_e64 s1, 0, v10
	v_cndmask_b32_e32 v4, v4, v11, vcc_lo
	v_cmp_class_f32_e64 vcc_lo, v3, 0x260
	v_cndmask_b32_e64 v6, v9, v6, s1
	v_cmp_lt_f32_e64 s1, 0, v12
	v_cndmask_b32_e32 v3, v4, v3, vcc_lo
	v_cndmask_b32_e64 v6, v6, v8, s1
	v_cmp_nge_f32_e32 vcc_lo, 1.0, v3
	v_mul_f32_e32 v4, 0x37800000, v6
	v_cndmask_b32_e32 v1, v7, v1, vcc_lo
	v_cmp_class_f32_e64 vcc_lo, v5, 0x260
	v_cndmask_b32_e64 v3, v6, v4, s0
	v_add_f32_e32 v4, 1.0, v1
	v_cndmask_b32_e32 v3, v3, v5, vcc_lo
	v_cmp_nge_f32_e32 vcc_lo, 1.0, v3
	v_cndmask_b32_e32 v1, v4, v1, vcc_lo
	s_cbranch_scc1 .LBB26_13
; %bb.14:
	v_mul_f32_e32 v1, 4.0, v1
	v_div_scale_f32 v2, null, 0x461c4000, 0x461c4000, v1
	v_div_scale_f32 v5, vcc_lo, v1, 0x461c4000, v1
	v_rcp_f32_e32 v3, v2
	v_fma_f32 v4, -v2, v3, 1.0
	v_fmac_f32_e32 v3, v4, v3
	v_mul_f32_e32 v4, v5, v3
	v_fma_f32 v6, -v2, v4, v5
	v_fmac_f32_e32 v4, v6, v3
	v_fma_f32 v2, -v2, v4, v5
	v_div_fmas_f32 v2, v2, v3, v4
	v_mov_b32_e32 v3, 0
	v_div_fixup_f32 v1, v2, 0x461c4000, v1
.LBB26_15:
	s_or_b32 exec_lo, exec_lo, s8
	v_or_b32_e32 v2, 0x100, v0
	v_cmp_gt_u32_e64 s0, s3, v2
	s_and_saveexec_b32 s8, s0
	s_cbranch_execz .LBB26_19
; %bb.16:
	v_add_nc_u32_e32 v2, s2, v2
	s_movk_i32 s9, 0x2710
	v_lshlrev_b32_e32 v3, 12, v2
	v_add3_u32 v2, v2, v3, 0x7ed55d16
	v_lshrrev_b32_e32 v3, 19, v2
	v_xor3_b32 v2, v2, v3, 0xc761c23c
	v_lshl_add_u32 v2, v2, 5, v2
	v_add_nc_u32_e32 v3, 0xe9f8cc1d, v2
	v_lshl_add_u32 v2, v2, 9, 0xaccf6200
	v_xor_b32_e32 v2, v3, v2
	v_lshlrev_b32_e32 v3, 3, v2
	v_add3_u32 v2, v2, v3, 0xfd7046c5
	v_lshrrev_b32_e32 v3, 16, v2
	v_xor3_b32 v2, v2, v3, 0xb55a4f09
	v_mul_hi_u32 v3, v2, 3
	v_sub_nc_u32_e32 v4, v2, v3
	v_lshrrev_b32_e32 v4, 1, v4
	v_add_nc_u32_e32 v3, v4, v3
	v_lshrrev_b32_e32 v3, 30, v3
	v_mul_lo_u32 v3, 0x7fffffff, v3
	v_sub_nc_u32_e32 v2, v2, v3
	v_max_u32_e32 v3, 1, v2
	v_mov_b32_e32 v2, 0
.LBB26_17:                              ; =>This Inner Loop Header: Depth=1
	v_mul_hi_u32 v4, 0xbc8f1391, v3
	s_add_i32 s9, s9, -2
	s_cmp_lg_u32 s9, 0
	v_lshrrev_b32_e32 v4, 15, v4
	v_mul_u32_u24_e32 v5, 0xadc8, v4
	v_mul_u32_u24_e32 v4, 0xd47, v4
	v_sub_nc_u32_e32 v3, v3, v5
	v_xor_b32_e32 v5, 0x7fffffff, v4
	v_sub_nc_u32_e32 v6, 0, v4
	v_mul_lo_u32 v3, 0xbc8f, v3
	v_cmp_lt_u32_e32 vcc_lo, v3, v4
	v_cndmask_b32_e32 v4, v6, v5, vcc_lo
	v_add_nc_u32_e32 v3, v4, v3
	v_mul_hi_u32 v4, 0xbc8f1391, v3
	v_lshrrev_b32_e32 v4, 15, v4
	v_mul_u32_u24_e32 v5, 0xadc8, v4
	v_mul_u32_u24_e32 v4, 0xd47, v4
	v_sub_nc_u32_e32 v5, v3, v5
	v_xor_b32_e32 v6, 0x7fffffff, v4
	v_sub_nc_u32_e32 v7, 0, v4
	v_add_nc_u32_e32 v3, -1, v3
	v_mul_lo_u32 v5, 0xbc8f, v5
	v_cvt_f32_u32_e32 v3, v3
	v_cmp_lt_u32_e32 vcc_lo, v5, v4
	v_cndmask_b32_e32 v4, v7, v6, vcc_lo
	v_add_nc_u32_e32 v4, v4, v5
	v_mul_hi_u32 v5, 0xbc8f1391, v4
	v_lshrrev_b32_e32 v5, 15, v5
	v_mul_u32_u24_e32 v6, 0xadc8, v5
	v_mul_u32_u24_e32 v5, 0xd47, v5
	v_sub_nc_u32_e32 v6, v4, v6
	v_xor_b32_e32 v7, 0x7fffffff, v5
	v_sub_nc_u32_e32 v8, 0, v5
	v_add_nc_u32_e32 v4, -1, v4
	v_mul_lo_u32 v6, 0xbc8f, v6
	v_cvt_f32_u32_e32 v4, v4
	v_fma_f32 v4, 0x30000000, v4, 0
	v_cmp_lt_u32_e32 vcc_lo, v6, v5
	v_mul_f32_e32 v4, v4, v4
	v_cndmask_b32_e32 v5, v8, v7, vcc_lo
	v_fma_f32 v7, 0x30000000, v3, 0
	v_add_nc_u32_e32 v5, v5, v6
	v_fmac_f32_e32 v4, v7, v7
	v_mul_hi_u32 v6, 0xbc8f1391, v5
	v_mul_f32_e32 v7, 0x4f800000, v4
	v_lshrrev_b32_e32 v3, 15, v6
	v_mul_u32_u24_e32 v6, 0xadc8, v3
	v_mul_u32_u24_e32 v3, 0xd47, v3
	v_sub_nc_u32_e32 v6, v5, v6
	v_xor_b32_e32 v8, 0x7fffffff, v3
	v_sub_nc_u32_e32 v9, 0, v3
	v_add_nc_u32_e32 v5, -1, v5
	v_mul_lo_u32 v6, 0xbc8f, v6
	v_cvt_f32_u32_e32 v5, v5
	v_fma_f32 v5, 0x30000000, v5, 0
	v_cmp_lt_u32_e32 vcc_lo, v6, v3
	v_cndmask_b32_e32 v3, v9, v8, vcc_lo
	v_cmp_gt_f32_e32 vcc_lo, 0xf800000, v4
	v_add_f32_e32 v8, 1.0, v2
	v_add_nc_u32_e32 v3, v3, v6
	v_cndmask_b32_e32 v4, v4, v7, vcc_lo
	v_add_nc_u32_e32 v6, -1, v3
	v_cvt_f32_u32_e32 v6, v6
	v_fma_f32 v6, 0x30000000, v6, 0
	v_mul_f32_e32 v6, v6, v6
	v_fmac_f32_e32 v6, v5, v5
	v_sqrt_f32_e32 v5, v4
	v_mul_f32_e32 v7, 0x4f800000, v6
	v_cmp_gt_f32_e64 s1, 0xf800000, v6
	v_cndmask_b32_e64 v6, v6, v7, s1
	v_add_nc_u32_e32 v7, -1, v5
	v_add_nc_u32_e32 v9, 1, v5
	v_sqrt_f32_e32 v10, v6
	v_fma_f32 v11, -v7, v5, v4
	v_fma_f32 v12, -v9, v5, v4
	v_cmp_ge_f32_e64 s2, 0, v11
	v_cndmask_b32_e64 v5, v5, v7, s2
	v_cmp_lt_f32_e64 s2, 0, v12
	v_add_nc_u32_e32 v7, -1, v10
	v_cndmask_b32_e64 v5, v5, v9, s2
	v_add_nc_u32_e32 v9, 1, v10
	v_fma_f32 v11, -v7, v10, v6
	v_mul_f32_e32 v12, 0x37800000, v5
	v_fma_f32 v13, -v9, v10, v6
	v_cmp_ge_f32_e64 s2, 0, v11
	v_cndmask_b32_e32 v5, v5, v12, vcc_lo
	v_cmp_class_f32_e64 vcc_lo, v4, 0x260
	v_cndmask_b32_e64 v7, v10, v7, s2
	v_cmp_lt_f32_e64 s2, 0, v13
	v_cndmask_b32_e32 v4, v5, v4, vcc_lo
	v_cndmask_b32_e64 v7, v7, v9, s2
	v_cmp_nge_f32_e32 vcc_lo, 1.0, v4
	v_mul_f32_e32 v5, 0x37800000, v7
	v_cndmask_b32_e32 v2, v8, v2, vcc_lo
	v_cmp_class_f32_e64 vcc_lo, v6, 0x260
	v_cndmask_b32_e64 v4, v7, v5, s1
	v_add_f32_e32 v5, 1.0, v2
	v_cndmask_b32_e32 v4, v4, v6, vcc_lo
	v_cmp_nge_f32_e32 vcc_lo, 1.0, v4
	v_cndmask_b32_e32 v2, v5, v2, vcc_lo
	s_cbranch_scc1 .LBB26_17
; %bb.18:
	v_mul_f32_e32 v2, 4.0, v2
	v_div_scale_f32 v3, null, 0x461c4000, 0x461c4000, v2
	v_rcp_f32_e32 v4, v3
	v_fma_f32 v5, -v3, v4, 1.0
	v_fmac_f32_e32 v4, v5, v4
	v_div_scale_f32 v5, vcc_lo, v2, 0x461c4000, v2
	v_mul_f32_e32 v6, v5, v4
	v_fma_f32 v7, -v3, v6, v5
	v_fmac_f32_e32 v6, v7, v4
	v_fma_f32 v3, -v3, v6, v5
	v_div_fmas_f32 v3, v3, v4, v6
	v_div_fixup_f32 v3, v3, 0x461c4000, v2
.LBB26_19:
	s_or_b32 exec_lo, exec_lo, s8
	v_mbcnt_lo_u32_b32 v2, -1, 0
	v_add_f32_e32 v3, v3, v1
	s_min_u32 s1, s3, 0x100
	v_cmp_ne_u32_e32 vcc_lo, 31, v2
	v_cndmask_b32_e64 v1, v1, v3, s0
	v_add_nc_u32_e32 v6, 1, v2
	v_cmp_gt_u32_e64 s0, 28, v2
	v_add_nc_u32_e32 v7, 2, v2
	v_add_co_ci_u32_e64 v4, null, 0, v2, vcc_lo
	v_cmp_gt_u32_e32 vcc_lo, 30, v2
	v_lshlrev_b32_e32 v3, 2, v4
	v_and_b32_e32 v4, 0xe0, v0
	v_cndmask_b32_e64 v5, 0, 2, vcc_lo
	ds_bpermute_b32 v3, v3, v1
	v_sub_nc_u32_e64 v4, s1, v4 clamp
	v_add_lshl_u32 v5, v5, v2, 2
	v_cmp_lt_u32_e32 vcc_lo, v6, v4
	v_cndmask_b32_e64 v6, 0, 4, s0
	v_cmp_lt_u32_e64 s0, v7, v4
	v_add_nc_u32_e32 v7, 4, v2
	v_add_lshl_u32 v6, v6, v2, 2
	s_waitcnt lgkmcnt(0)
	v_add_f32_e32 v3, v1, v3
	v_cndmask_b32_e32 v3, v1, v3, vcc_lo
	ds_bpermute_b32 v5, v5, v3
	s_waitcnt lgkmcnt(0)
	v_add_f32_e32 v5, v3, v5
	v_cndmask_b32_e64 v3, v3, v5, s0
	v_cmp_gt_u32_e64 s0, 24, v2
	ds_bpermute_b32 v5, v6, v3
	v_cndmask_b32_e64 v6, 0, 8, s0
	v_cmp_lt_u32_e64 s0, v7, v4
	v_add_nc_u32_e32 v7, 8, v2
	v_add_lshl_u32 v6, v6, v2, 2
	s_waitcnt lgkmcnt(0)
	v_add_f32_e32 v5, v3, v5
	v_cndmask_b32_e64 v5, v3, v5, s0
	v_lshlrev_b32_e32 v3, 2, v2
	v_cmp_lt_u32_e64 s0, v7, v4
	v_add_nc_u32_e32 v7, 16, v2
	ds_bpermute_b32 v6, v6, v5
	v_or_b32_e32 v8, 64, v3
	s_waitcnt lgkmcnt(0)
	v_add_f32_e32 v6, v5, v6
	v_cndmask_b32_e64 v5, v5, v6, s0
	v_cmp_lt_u32_e64 s0, v7, v4
	ds_bpermute_b32 v6, v8, v5
	s_waitcnt lgkmcnt(0)
	v_add_f32_e32 v6, v5, v6
	v_cndmask_b32_e64 v4, v5, v6, s0
	s_mov_b32 s0, exec_lo
	v_cndmask_b32_e32 v1, v1, v4, vcc_lo
	v_cmpx_eq_u32_e32 0, v2
; %bb.20:
	v_lshrrev_b32_e32 v4, 3, v0
	v_and_b32_e32 v4, 28, v4
	ds_write_b32 v4, v1 offset:32
; %bb.21:
	s_or_b32 exec_lo, exec_lo, s0
	s_mov_b32 s2, exec_lo
	s_waitcnt lgkmcnt(0)
	s_barrier
	buffer_gl0_inv
	v_cmpx_gt_u32_e32 8, v0
	s_cbranch_execz .LBB26_23
; %bb.22:
	ds_read_b32 v1, v3 offset:32
	v_and_b32_e32 v4, 7, v2
	s_add_i32 s1, s1, 31
	v_or_b32_e32 v3, 16, v3
	s_lshr_b32 s1, s1, 5
	v_cmp_ne_u32_e32 vcc_lo, 7, v4
	v_add_nc_u32_e32 v7, 1, v4
	v_add_co_ci_u32_e64 v5, null, 0, v2, vcc_lo
	v_cmp_gt_u32_e32 vcc_lo, 6, v4
	v_lshlrev_b32_e32 v5, 2, v5
	v_cndmask_b32_e64 v6, 0, 2, vcc_lo
	v_cmp_gt_u32_e32 vcc_lo, s1, v7
	s_waitcnt lgkmcnt(0)
	ds_bpermute_b32 v5, v5, v1
	v_add_lshl_u32 v2, v6, v2, 2
	v_add_nc_u32_e32 v6, 2, v4
	v_add_nc_u32_e32 v4, 4, v4
	v_cmp_gt_u32_e64 s0, s1, v6
	s_waitcnt lgkmcnt(0)
	v_add_f32_e32 v5, v1, v5
	v_cndmask_b32_e32 v5, v1, v5, vcc_lo
	ds_bpermute_b32 v2, v2, v5
	s_waitcnt lgkmcnt(0)
	v_add_f32_e32 v2, v5, v2
	v_cndmask_b32_e64 v2, v5, v2, s0
	v_cmp_gt_u32_e64 s0, s1, v4
	ds_bpermute_b32 v3, v3, v2
	s_waitcnt lgkmcnt(0)
	v_add_f32_e32 v3, v2, v3
	v_cndmask_b32_e64 v2, v2, v3, s0
	v_cndmask_b32_e32 v1, v1, v2, vcc_lo
.LBB26_23:
	s_or_b32 exec_lo, exec_lo, s2
.LBB26_24:
	s_load_dword s0, s[4:5], 0x30
	s_mov_b32 s1, exec_lo
	v_cmpx_eq_u32_e32 0, v0
	s_cbranch_execz .LBB26_26
; %bb.25:
	s_mul_i32 s1, s16, s15
	s_mul_hi_u32 s2, s16, s14
	s_mul_i32 s3, s17, s14
	s_add_i32 s1, s2, s1
	s_mul_i32 s2, s16, s14
	s_add_i32 s3, s1, s3
	s_lshl_b64 s[2:3], s[2:3], 2
	s_add_u32 s2, s12, s2
	s_addc_u32 s3, s13, s3
	s_cmp_eq_u64 s[10:11], 0
	s_cselect_b32 s1, -1, 0
	s_waitcnt lgkmcnt(0)
	v_cndmask_b32_e64 v0, v1, s0, s1
	s_lshl_b64 s[0:1], s[6:7], 2
	v_mov_b32_e32 v1, 0
	s_add_u32 s0, s2, s0
	s_addc_u32 s1, s3, s1
	global_store_dword v1, v0, s[0:1]
.LBB26_26:
	s_endpgm
	.section	.rodata,"a",@progbits
	.p2align	6, 0x0
	.amdhsa_kernel _ZN7rocprim17ROCPRIM_400000_NS6detail17trampoline_kernelINS0_14default_configENS1_22reduce_config_selectorIfEEZNS1_11reduce_implILb1ES3_N6thrust23THRUST_200600_302600_NS11hip_rocprim26transform_input_iterator_tIfNS8_17counting_iteratorIiNS8_11use_defaultESC_SC_EE11estimate_piEEPffNS8_4plusIfEEEE10hipError_tPvRmT1_T2_T3_mT4_P12ihipStream_tbEUlT_E0_NS1_11comp_targetILNS1_3genE8ELNS1_11target_archE1030ELNS1_3gpuE2ELNS1_3repE0EEENS1_30default_config_static_selectorELNS0_4arch9wavefront6targetE0EEEvSM_
		.amdhsa_group_segment_fixed_size 64
		.amdhsa_private_segment_fixed_size 0
		.amdhsa_kernarg_size 56
		.amdhsa_user_sgpr_count 6
		.amdhsa_user_sgpr_private_segment_buffer 1
		.amdhsa_user_sgpr_dispatch_ptr 0
		.amdhsa_user_sgpr_queue_ptr 0
		.amdhsa_user_sgpr_kernarg_segment_ptr 1
		.amdhsa_user_sgpr_dispatch_id 0
		.amdhsa_user_sgpr_flat_scratch_init 0
		.amdhsa_user_sgpr_private_segment_size 0
		.amdhsa_wavefront_size32 1
		.amdhsa_uses_dynamic_stack 0
		.amdhsa_system_sgpr_private_segment_wavefront_offset 0
		.amdhsa_system_sgpr_workgroup_id_x 1
		.amdhsa_system_sgpr_workgroup_id_y 0
		.amdhsa_system_sgpr_workgroup_id_z 0
		.amdhsa_system_sgpr_workgroup_info 0
		.amdhsa_system_vgpr_workitem_id 0
		.amdhsa_next_free_vgpr 14
		.amdhsa_next_free_sgpr 18
		.amdhsa_reserve_vcc 1
		.amdhsa_reserve_flat_scratch 0
		.amdhsa_float_round_mode_32 0
		.amdhsa_float_round_mode_16_64 0
		.amdhsa_float_denorm_mode_32 3
		.amdhsa_float_denorm_mode_16_64 3
		.amdhsa_dx10_clamp 1
		.amdhsa_ieee_mode 1
		.amdhsa_fp16_overflow 0
		.amdhsa_workgroup_processor_mode 1
		.amdhsa_memory_ordered 1
		.amdhsa_forward_progress 1
		.amdhsa_shared_vgpr_count 0
		.amdhsa_exception_fp_ieee_invalid_op 0
		.amdhsa_exception_fp_denorm_src 0
		.amdhsa_exception_fp_ieee_div_zero 0
		.amdhsa_exception_fp_ieee_overflow 0
		.amdhsa_exception_fp_ieee_underflow 0
		.amdhsa_exception_fp_ieee_inexact 0
		.amdhsa_exception_int_div_zero 0
	.end_amdhsa_kernel
	.section	.text._ZN7rocprim17ROCPRIM_400000_NS6detail17trampoline_kernelINS0_14default_configENS1_22reduce_config_selectorIfEEZNS1_11reduce_implILb1ES3_N6thrust23THRUST_200600_302600_NS11hip_rocprim26transform_input_iterator_tIfNS8_17counting_iteratorIiNS8_11use_defaultESC_SC_EE11estimate_piEEPffNS8_4plusIfEEEE10hipError_tPvRmT1_T2_T3_mT4_P12ihipStream_tbEUlT_E0_NS1_11comp_targetILNS1_3genE8ELNS1_11target_archE1030ELNS1_3gpuE2ELNS1_3repE0EEENS1_30default_config_static_selectorELNS0_4arch9wavefront6targetE0EEEvSM_,"axG",@progbits,_ZN7rocprim17ROCPRIM_400000_NS6detail17trampoline_kernelINS0_14default_configENS1_22reduce_config_selectorIfEEZNS1_11reduce_implILb1ES3_N6thrust23THRUST_200600_302600_NS11hip_rocprim26transform_input_iterator_tIfNS8_17counting_iteratorIiNS8_11use_defaultESC_SC_EE11estimate_piEEPffNS8_4plusIfEEEE10hipError_tPvRmT1_T2_T3_mT4_P12ihipStream_tbEUlT_E0_NS1_11comp_targetILNS1_3genE8ELNS1_11target_archE1030ELNS1_3gpuE2ELNS1_3repE0EEENS1_30default_config_static_selectorELNS0_4arch9wavefront6targetE0EEEvSM_,comdat
.Lfunc_end26:
	.size	_ZN7rocprim17ROCPRIM_400000_NS6detail17trampoline_kernelINS0_14default_configENS1_22reduce_config_selectorIfEEZNS1_11reduce_implILb1ES3_N6thrust23THRUST_200600_302600_NS11hip_rocprim26transform_input_iterator_tIfNS8_17counting_iteratorIiNS8_11use_defaultESC_SC_EE11estimate_piEEPffNS8_4plusIfEEEE10hipError_tPvRmT1_T2_T3_mT4_P12ihipStream_tbEUlT_E0_NS1_11comp_targetILNS1_3genE8ELNS1_11target_archE1030ELNS1_3gpuE2ELNS1_3repE0EEENS1_30default_config_static_selectorELNS0_4arch9wavefront6targetE0EEEvSM_, .Lfunc_end26-_ZN7rocprim17ROCPRIM_400000_NS6detail17trampoline_kernelINS0_14default_configENS1_22reduce_config_selectorIfEEZNS1_11reduce_implILb1ES3_N6thrust23THRUST_200600_302600_NS11hip_rocprim26transform_input_iterator_tIfNS8_17counting_iteratorIiNS8_11use_defaultESC_SC_EE11estimate_piEEPffNS8_4plusIfEEEE10hipError_tPvRmT1_T2_T3_mT4_P12ihipStream_tbEUlT_E0_NS1_11comp_targetILNS1_3genE8ELNS1_11target_archE1030ELNS1_3gpuE2ELNS1_3repE0EEENS1_30default_config_static_selectorELNS0_4arch9wavefront6targetE0EEEvSM_
                                        ; -- End function
	.set _ZN7rocprim17ROCPRIM_400000_NS6detail17trampoline_kernelINS0_14default_configENS1_22reduce_config_selectorIfEEZNS1_11reduce_implILb1ES3_N6thrust23THRUST_200600_302600_NS11hip_rocprim26transform_input_iterator_tIfNS8_17counting_iteratorIiNS8_11use_defaultESC_SC_EE11estimate_piEEPffNS8_4plusIfEEEE10hipError_tPvRmT1_T2_T3_mT4_P12ihipStream_tbEUlT_E0_NS1_11comp_targetILNS1_3genE8ELNS1_11target_archE1030ELNS1_3gpuE2ELNS1_3repE0EEENS1_30default_config_static_selectorELNS0_4arch9wavefront6targetE0EEEvSM_.num_vgpr, 14
	.set _ZN7rocprim17ROCPRIM_400000_NS6detail17trampoline_kernelINS0_14default_configENS1_22reduce_config_selectorIfEEZNS1_11reduce_implILb1ES3_N6thrust23THRUST_200600_302600_NS11hip_rocprim26transform_input_iterator_tIfNS8_17counting_iteratorIiNS8_11use_defaultESC_SC_EE11estimate_piEEPffNS8_4plusIfEEEE10hipError_tPvRmT1_T2_T3_mT4_P12ihipStream_tbEUlT_E0_NS1_11comp_targetILNS1_3genE8ELNS1_11target_archE1030ELNS1_3gpuE2ELNS1_3repE0EEENS1_30default_config_static_selectorELNS0_4arch9wavefront6targetE0EEEvSM_.num_agpr, 0
	.set _ZN7rocprim17ROCPRIM_400000_NS6detail17trampoline_kernelINS0_14default_configENS1_22reduce_config_selectorIfEEZNS1_11reduce_implILb1ES3_N6thrust23THRUST_200600_302600_NS11hip_rocprim26transform_input_iterator_tIfNS8_17counting_iteratorIiNS8_11use_defaultESC_SC_EE11estimate_piEEPffNS8_4plusIfEEEE10hipError_tPvRmT1_T2_T3_mT4_P12ihipStream_tbEUlT_E0_NS1_11comp_targetILNS1_3genE8ELNS1_11target_archE1030ELNS1_3gpuE2ELNS1_3repE0EEENS1_30default_config_static_selectorELNS0_4arch9wavefront6targetE0EEEvSM_.numbered_sgpr, 18
	.set _ZN7rocprim17ROCPRIM_400000_NS6detail17trampoline_kernelINS0_14default_configENS1_22reduce_config_selectorIfEEZNS1_11reduce_implILb1ES3_N6thrust23THRUST_200600_302600_NS11hip_rocprim26transform_input_iterator_tIfNS8_17counting_iteratorIiNS8_11use_defaultESC_SC_EE11estimate_piEEPffNS8_4plusIfEEEE10hipError_tPvRmT1_T2_T3_mT4_P12ihipStream_tbEUlT_E0_NS1_11comp_targetILNS1_3genE8ELNS1_11target_archE1030ELNS1_3gpuE2ELNS1_3repE0EEENS1_30default_config_static_selectorELNS0_4arch9wavefront6targetE0EEEvSM_.num_named_barrier, 0
	.set _ZN7rocprim17ROCPRIM_400000_NS6detail17trampoline_kernelINS0_14default_configENS1_22reduce_config_selectorIfEEZNS1_11reduce_implILb1ES3_N6thrust23THRUST_200600_302600_NS11hip_rocprim26transform_input_iterator_tIfNS8_17counting_iteratorIiNS8_11use_defaultESC_SC_EE11estimate_piEEPffNS8_4plusIfEEEE10hipError_tPvRmT1_T2_T3_mT4_P12ihipStream_tbEUlT_E0_NS1_11comp_targetILNS1_3genE8ELNS1_11target_archE1030ELNS1_3gpuE2ELNS1_3repE0EEENS1_30default_config_static_selectorELNS0_4arch9wavefront6targetE0EEEvSM_.private_seg_size, 0
	.set _ZN7rocprim17ROCPRIM_400000_NS6detail17trampoline_kernelINS0_14default_configENS1_22reduce_config_selectorIfEEZNS1_11reduce_implILb1ES3_N6thrust23THRUST_200600_302600_NS11hip_rocprim26transform_input_iterator_tIfNS8_17counting_iteratorIiNS8_11use_defaultESC_SC_EE11estimate_piEEPffNS8_4plusIfEEEE10hipError_tPvRmT1_T2_T3_mT4_P12ihipStream_tbEUlT_E0_NS1_11comp_targetILNS1_3genE8ELNS1_11target_archE1030ELNS1_3gpuE2ELNS1_3repE0EEENS1_30default_config_static_selectorELNS0_4arch9wavefront6targetE0EEEvSM_.uses_vcc, 1
	.set _ZN7rocprim17ROCPRIM_400000_NS6detail17trampoline_kernelINS0_14default_configENS1_22reduce_config_selectorIfEEZNS1_11reduce_implILb1ES3_N6thrust23THRUST_200600_302600_NS11hip_rocprim26transform_input_iterator_tIfNS8_17counting_iteratorIiNS8_11use_defaultESC_SC_EE11estimate_piEEPffNS8_4plusIfEEEE10hipError_tPvRmT1_T2_T3_mT4_P12ihipStream_tbEUlT_E0_NS1_11comp_targetILNS1_3genE8ELNS1_11target_archE1030ELNS1_3gpuE2ELNS1_3repE0EEENS1_30default_config_static_selectorELNS0_4arch9wavefront6targetE0EEEvSM_.uses_flat_scratch, 0
	.set _ZN7rocprim17ROCPRIM_400000_NS6detail17trampoline_kernelINS0_14default_configENS1_22reduce_config_selectorIfEEZNS1_11reduce_implILb1ES3_N6thrust23THRUST_200600_302600_NS11hip_rocprim26transform_input_iterator_tIfNS8_17counting_iteratorIiNS8_11use_defaultESC_SC_EE11estimate_piEEPffNS8_4plusIfEEEE10hipError_tPvRmT1_T2_T3_mT4_P12ihipStream_tbEUlT_E0_NS1_11comp_targetILNS1_3genE8ELNS1_11target_archE1030ELNS1_3gpuE2ELNS1_3repE0EEENS1_30default_config_static_selectorELNS0_4arch9wavefront6targetE0EEEvSM_.has_dyn_sized_stack, 0
	.set _ZN7rocprim17ROCPRIM_400000_NS6detail17trampoline_kernelINS0_14default_configENS1_22reduce_config_selectorIfEEZNS1_11reduce_implILb1ES3_N6thrust23THRUST_200600_302600_NS11hip_rocprim26transform_input_iterator_tIfNS8_17counting_iteratorIiNS8_11use_defaultESC_SC_EE11estimate_piEEPffNS8_4plusIfEEEE10hipError_tPvRmT1_T2_T3_mT4_P12ihipStream_tbEUlT_E0_NS1_11comp_targetILNS1_3genE8ELNS1_11target_archE1030ELNS1_3gpuE2ELNS1_3repE0EEENS1_30default_config_static_selectorELNS0_4arch9wavefront6targetE0EEEvSM_.has_recursion, 0
	.set _ZN7rocprim17ROCPRIM_400000_NS6detail17trampoline_kernelINS0_14default_configENS1_22reduce_config_selectorIfEEZNS1_11reduce_implILb1ES3_N6thrust23THRUST_200600_302600_NS11hip_rocprim26transform_input_iterator_tIfNS8_17counting_iteratorIiNS8_11use_defaultESC_SC_EE11estimate_piEEPffNS8_4plusIfEEEE10hipError_tPvRmT1_T2_T3_mT4_P12ihipStream_tbEUlT_E0_NS1_11comp_targetILNS1_3genE8ELNS1_11target_archE1030ELNS1_3gpuE2ELNS1_3repE0EEENS1_30default_config_static_selectorELNS0_4arch9wavefront6targetE0EEEvSM_.has_indirect_call, 0
	.section	.AMDGPU.csdata,"",@progbits
; Kernel info:
; codeLenInByte = 4592
; TotalNumSgprs: 20
; NumVgprs: 14
; ScratchSize: 0
; MemoryBound: 0
; FloatMode: 240
; IeeeMode: 1
; LDSByteSize: 64 bytes/workgroup (compile time only)
; SGPRBlocks: 0
; VGPRBlocks: 1
; NumSGPRsForWavesPerEU: 20
; NumVGPRsForWavesPerEU: 14
; Occupancy: 16
; WaveLimiterHint : 0
; COMPUTE_PGM_RSRC2:SCRATCH_EN: 0
; COMPUTE_PGM_RSRC2:USER_SGPR: 6
; COMPUTE_PGM_RSRC2:TRAP_HANDLER: 0
; COMPUTE_PGM_RSRC2:TGID_X_EN: 1
; COMPUTE_PGM_RSRC2:TGID_Y_EN: 0
; COMPUTE_PGM_RSRC2:TGID_Z_EN: 0
; COMPUTE_PGM_RSRC2:TIDIG_COMP_CNT: 0
	.section	.text._ZN7rocprim17ROCPRIM_400000_NS6detail17trampoline_kernelINS0_14default_configENS1_22reduce_config_selectorIfEEZNS1_11reduce_implILb1ES3_N6thrust23THRUST_200600_302600_NS11hip_rocprim26transform_input_iterator_tIfNS8_17counting_iteratorIiNS8_11use_defaultESC_SC_EE11estimate_piEEPffNS8_4plusIfEEEE10hipError_tPvRmT1_T2_T3_mT4_P12ihipStream_tbEUlT_E1_NS1_11comp_targetILNS1_3genE0ELNS1_11target_archE4294967295ELNS1_3gpuE0ELNS1_3repE0EEENS1_30default_config_static_selectorELNS0_4arch9wavefront6targetE0EEEvSM_,"axG",@progbits,_ZN7rocprim17ROCPRIM_400000_NS6detail17trampoline_kernelINS0_14default_configENS1_22reduce_config_selectorIfEEZNS1_11reduce_implILb1ES3_N6thrust23THRUST_200600_302600_NS11hip_rocprim26transform_input_iterator_tIfNS8_17counting_iteratorIiNS8_11use_defaultESC_SC_EE11estimate_piEEPffNS8_4plusIfEEEE10hipError_tPvRmT1_T2_T3_mT4_P12ihipStream_tbEUlT_E1_NS1_11comp_targetILNS1_3genE0ELNS1_11target_archE4294967295ELNS1_3gpuE0ELNS1_3repE0EEENS1_30default_config_static_selectorELNS0_4arch9wavefront6targetE0EEEvSM_,comdat
	.protected	_ZN7rocprim17ROCPRIM_400000_NS6detail17trampoline_kernelINS0_14default_configENS1_22reduce_config_selectorIfEEZNS1_11reduce_implILb1ES3_N6thrust23THRUST_200600_302600_NS11hip_rocprim26transform_input_iterator_tIfNS8_17counting_iteratorIiNS8_11use_defaultESC_SC_EE11estimate_piEEPffNS8_4plusIfEEEE10hipError_tPvRmT1_T2_T3_mT4_P12ihipStream_tbEUlT_E1_NS1_11comp_targetILNS1_3genE0ELNS1_11target_archE4294967295ELNS1_3gpuE0ELNS1_3repE0EEENS1_30default_config_static_selectorELNS0_4arch9wavefront6targetE0EEEvSM_ ; -- Begin function _ZN7rocprim17ROCPRIM_400000_NS6detail17trampoline_kernelINS0_14default_configENS1_22reduce_config_selectorIfEEZNS1_11reduce_implILb1ES3_N6thrust23THRUST_200600_302600_NS11hip_rocprim26transform_input_iterator_tIfNS8_17counting_iteratorIiNS8_11use_defaultESC_SC_EE11estimate_piEEPffNS8_4plusIfEEEE10hipError_tPvRmT1_T2_T3_mT4_P12ihipStream_tbEUlT_E1_NS1_11comp_targetILNS1_3genE0ELNS1_11target_archE4294967295ELNS1_3gpuE0ELNS1_3repE0EEENS1_30default_config_static_selectorELNS0_4arch9wavefront6targetE0EEEvSM_
	.globl	_ZN7rocprim17ROCPRIM_400000_NS6detail17trampoline_kernelINS0_14default_configENS1_22reduce_config_selectorIfEEZNS1_11reduce_implILb1ES3_N6thrust23THRUST_200600_302600_NS11hip_rocprim26transform_input_iterator_tIfNS8_17counting_iteratorIiNS8_11use_defaultESC_SC_EE11estimate_piEEPffNS8_4plusIfEEEE10hipError_tPvRmT1_T2_T3_mT4_P12ihipStream_tbEUlT_E1_NS1_11comp_targetILNS1_3genE0ELNS1_11target_archE4294967295ELNS1_3gpuE0ELNS1_3repE0EEENS1_30default_config_static_selectorELNS0_4arch9wavefront6targetE0EEEvSM_
	.p2align	8
	.type	_ZN7rocprim17ROCPRIM_400000_NS6detail17trampoline_kernelINS0_14default_configENS1_22reduce_config_selectorIfEEZNS1_11reduce_implILb1ES3_N6thrust23THRUST_200600_302600_NS11hip_rocprim26transform_input_iterator_tIfNS8_17counting_iteratorIiNS8_11use_defaultESC_SC_EE11estimate_piEEPffNS8_4plusIfEEEE10hipError_tPvRmT1_T2_T3_mT4_P12ihipStream_tbEUlT_E1_NS1_11comp_targetILNS1_3genE0ELNS1_11target_archE4294967295ELNS1_3gpuE0ELNS1_3repE0EEENS1_30default_config_static_selectorELNS0_4arch9wavefront6targetE0EEEvSM_,@function
_ZN7rocprim17ROCPRIM_400000_NS6detail17trampoline_kernelINS0_14default_configENS1_22reduce_config_selectorIfEEZNS1_11reduce_implILb1ES3_N6thrust23THRUST_200600_302600_NS11hip_rocprim26transform_input_iterator_tIfNS8_17counting_iteratorIiNS8_11use_defaultESC_SC_EE11estimate_piEEPffNS8_4plusIfEEEE10hipError_tPvRmT1_T2_T3_mT4_P12ihipStream_tbEUlT_E1_NS1_11comp_targetILNS1_3genE0ELNS1_11target_archE4294967295ELNS1_3gpuE0ELNS1_3repE0EEENS1_30default_config_static_selectorELNS0_4arch9wavefront6targetE0EEEvSM_: ; @_ZN7rocprim17ROCPRIM_400000_NS6detail17trampoline_kernelINS0_14default_configENS1_22reduce_config_selectorIfEEZNS1_11reduce_implILb1ES3_N6thrust23THRUST_200600_302600_NS11hip_rocprim26transform_input_iterator_tIfNS8_17counting_iteratorIiNS8_11use_defaultESC_SC_EE11estimate_piEEPffNS8_4plusIfEEEE10hipError_tPvRmT1_T2_T3_mT4_P12ihipStream_tbEUlT_E1_NS1_11comp_targetILNS1_3genE0ELNS1_11target_archE4294967295ELNS1_3gpuE0ELNS1_3repE0EEENS1_30default_config_static_selectorELNS0_4arch9wavefront6targetE0EEEvSM_
; %bb.0:
	.section	.rodata,"a",@progbits
	.p2align	6, 0x0
	.amdhsa_kernel _ZN7rocprim17ROCPRIM_400000_NS6detail17trampoline_kernelINS0_14default_configENS1_22reduce_config_selectorIfEEZNS1_11reduce_implILb1ES3_N6thrust23THRUST_200600_302600_NS11hip_rocprim26transform_input_iterator_tIfNS8_17counting_iteratorIiNS8_11use_defaultESC_SC_EE11estimate_piEEPffNS8_4plusIfEEEE10hipError_tPvRmT1_T2_T3_mT4_P12ihipStream_tbEUlT_E1_NS1_11comp_targetILNS1_3genE0ELNS1_11target_archE4294967295ELNS1_3gpuE0ELNS1_3repE0EEENS1_30default_config_static_selectorELNS0_4arch9wavefront6targetE0EEEvSM_
		.amdhsa_group_segment_fixed_size 0
		.amdhsa_private_segment_fixed_size 0
		.amdhsa_kernarg_size 40
		.amdhsa_user_sgpr_count 6
		.amdhsa_user_sgpr_private_segment_buffer 1
		.amdhsa_user_sgpr_dispatch_ptr 0
		.amdhsa_user_sgpr_queue_ptr 0
		.amdhsa_user_sgpr_kernarg_segment_ptr 1
		.amdhsa_user_sgpr_dispatch_id 0
		.amdhsa_user_sgpr_flat_scratch_init 0
		.amdhsa_user_sgpr_private_segment_size 0
		.amdhsa_wavefront_size32 1
		.amdhsa_uses_dynamic_stack 0
		.amdhsa_system_sgpr_private_segment_wavefront_offset 0
		.amdhsa_system_sgpr_workgroup_id_x 1
		.amdhsa_system_sgpr_workgroup_id_y 0
		.amdhsa_system_sgpr_workgroup_id_z 0
		.amdhsa_system_sgpr_workgroup_info 0
		.amdhsa_system_vgpr_workitem_id 0
		.amdhsa_next_free_vgpr 1
		.amdhsa_next_free_sgpr 1
		.amdhsa_reserve_vcc 0
		.amdhsa_reserve_flat_scratch 0
		.amdhsa_float_round_mode_32 0
		.amdhsa_float_round_mode_16_64 0
		.amdhsa_float_denorm_mode_32 3
		.amdhsa_float_denorm_mode_16_64 3
		.amdhsa_dx10_clamp 1
		.amdhsa_ieee_mode 1
		.amdhsa_fp16_overflow 0
		.amdhsa_workgroup_processor_mode 1
		.amdhsa_memory_ordered 1
		.amdhsa_forward_progress 1
		.amdhsa_shared_vgpr_count 0
		.amdhsa_exception_fp_ieee_invalid_op 0
		.amdhsa_exception_fp_denorm_src 0
		.amdhsa_exception_fp_ieee_div_zero 0
		.amdhsa_exception_fp_ieee_overflow 0
		.amdhsa_exception_fp_ieee_underflow 0
		.amdhsa_exception_fp_ieee_inexact 0
		.amdhsa_exception_int_div_zero 0
	.end_amdhsa_kernel
	.section	.text._ZN7rocprim17ROCPRIM_400000_NS6detail17trampoline_kernelINS0_14default_configENS1_22reduce_config_selectorIfEEZNS1_11reduce_implILb1ES3_N6thrust23THRUST_200600_302600_NS11hip_rocprim26transform_input_iterator_tIfNS8_17counting_iteratorIiNS8_11use_defaultESC_SC_EE11estimate_piEEPffNS8_4plusIfEEEE10hipError_tPvRmT1_T2_T3_mT4_P12ihipStream_tbEUlT_E1_NS1_11comp_targetILNS1_3genE0ELNS1_11target_archE4294967295ELNS1_3gpuE0ELNS1_3repE0EEENS1_30default_config_static_selectorELNS0_4arch9wavefront6targetE0EEEvSM_,"axG",@progbits,_ZN7rocprim17ROCPRIM_400000_NS6detail17trampoline_kernelINS0_14default_configENS1_22reduce_config_selectorIfEEZNS1_11reduce_implILb1ES3_N6thrust23THRUST_200600_302600_NS11hip_rocprim26transform_input_iterator_tIfNS8_17counting_iteratorIiNS8_11use_defaultESC_SC_EE11estimate_piEEPffNS8_4plusIfEEEE10hipError_tPvRmT1_T2_T3_mT4_P12ihipStream_tbEUlT_E1_NS1_11comp_targetILNS1_3genE0ELNS1_11target_archE4294967295ELNS1_3gpuE0ELNS1_3repE0EEENS1_30default_config_static_selectorELNS0_4arch9wavefront6targetE0EEEvSM_,comdat
.Lfunc_end27:
	.size	_ZN7rocprim17ROCPRIM_400000_NS6detail17trampoline_kernelINS0_14default_configENS1_22reduce_config_selectorIfEEZNS1_11reduce_implILb1ES3_N6thrust23THRUST_200600_302600_NS11hip_rocprim26transform_input_iterator_tIfNS8_17counting_iteratorIiNS8_11use_defaultESC_SC_EE11estimate_piEEPffNS8_4plusIfEEEE10hipError_tPvRmT1_T2_T3_mT4_P12ihipStream_tbEUlT_E1_NS1_11comp_targetILNS1_3genE0ELNS1_11target_archE4294967295ELNS1_3gpuE0ELNS1_3repE0EEENS1_30default_config_static_selectorELNS0_4arch9wavefront6targetE0EEEvSM_, .Lfunc_end27-_ZN7rocprim17ROCPRIM_400000_NS6detail17trampoline_kernelINS0_14default_configENS1_22reduce_config_selectorIfEEZNS1_11reduce_implILb1ES3_N6thrust23THRUST_200600_302600_NS11hip_rocprim26transform_input_iterator_tIfNS8_17counting_iteratorIiNS8_11use_defaultESC_SC_EE11estimate_piEEPffNS8_4plusIfEEEE10hipError_tPvRmT1_T2_T3_mT4_P12ihipStream_tbEUlT_E1_NS1_11comp_targetILNS1_3genE0ELNS1_11target_archE4294967295ELNS1_3gpuE0ELNS1_3repE0EEENS1_30default_config_static_selectorELNS0_4arch9wavefront6targetE0EEEvSM_
                                        ; -- End function
	.set _ZN7rocprim17ROCPRIM_400000_NS6detail17trampoline_kernelINS0_14default_configENS1_22reduce_config_selectorIfEEZNS1_11reduce_implILb1ES3_N6thrust23THRUST_200600_302600_NS11hip_rocprim26transform_input_iterator_tIfNS8_17counting_iteratorIiNS8_11use_defaultESC_SC_EE11estimate_piEEPffNS8_4plusIfEEEE10hipError_tPvRmT1_T2_T3_mT4_P12ihipStream_tbEUlT_E1_NS1_11comp_targetILNS1_3genE0ELNS1_11target_archE4294967295ELNS1_3gpuE0ELNS1_3repE0EEENS1_30default_config_static_selectorELNS0_4arch9wavefront6targetE0EEEvSM_.num_vgpr, 0
	.set _ZN7rocprim17ROCPRIM_400000_NS6detail17trampoline_kernelINS0_14default_configENS1_22reduce_config_selectorIfEEZNS1_11reduce_implILb1ES3_N6thrust23THRUST_200600_302600_NS11hip_rocprim26transform_input_iterator_tIfNS8_17counting_iteratorIiNS8_11use_defaultESC_SC_EE11estimate_piEEPffNS8_4plusIfEEEE10hipError_tPvRmT1_T2_T3_mT4_P12ihipStream_tbEUlT_E1_NS1_11comp_targetILNS1_3genE0ELNS1_11target_archE4294967295ELNS1_3gpuE0ELNS1_3repE0EEENS1_30default_config_static_selectorELNS0_4arch9wavefront6targetE0EEEvSM_.num_agpr, 0
	.set _ZN7rocprim17ROCPRIM_400000_NS6detail17trampoline_kernelINS0_14default_configENS1_22reduce_config_selectorIfEEZNS1_11reduce_implILb1ES3_N6thrust23THRUST_200600_302600_NS11hip_rocprim26transform_input_iterator_tIfNS8_17counting_iteratorIiNS8_11use_defaultESC_SC_EE11estimate_piEEPffNS8_4plusIfEEEE10hipError_tPvRmT1_T2_T3_mT4_P12ihipStream_tbEUlT_E1_NS1_11comp_targetILNS1_3genE0ELNS1_11target_archE4294967295ELNS1_3gpuE0ELNS1_3repE0EEENS1_30default_config_static_selectorELNS0_4arch9wavefront6targetE0EEEvSM_.numbered_sgpr, 0
	.set _ZN7rocprim17ROCPRIM_400000_NS6detail17trampoline_kernelINS0_14default_configENS1_22reduce_config_selectorIfEEZNS1_11reduce_implILb1ES3_N6thrust23THRUST_200600_302600_NS11hip_rocprim26transform_input_iterator_tIfNS8_17counting_iteratorIiNS8_11use_defaultESC_SC_EE11estimate_piEEPffNS8_4plusIfEEEE10hipError_tPvRmT1_T2_T3_mT4_P12ihipStream_tbEUlT_E1_NS1_11comp_targetILNS1_3genE0ELNS1_11target_archE4294967295ELNS1_3gpuE0ELNS1_3repE0EEENS1_30default_config_static_selectorELNS0_4arch9wavefront6targetE0EEEvSM_.num_named_barrier, 0
	.set _ZN7rocprim17ROCPRIM_400000_NS6detail17trampoline_kernelINS0_14default_configENS1_22reduce_config_selectorIfEEZNS1_11reduce_implILb1ES3_N6thrust23THRUST_200600_302600_NS11hip_rocprim26transform_input_iterator_tIfNS8_17counting_iteratorIiNS8_11use_defaultESC_SC_EE11estimate_piEEPffNS8_4plusIfEEEE10hipError_tPvRmT1_T2_T3_mT4_P12ihipStream_tbEUlT_E1_NS1_11comp_targetILNS1_3genE0ELNS1_11target_archE4294967295ELNS1_3gpuE0ELNS1_3repE0EEENS1_30default_config_static_selectorELNS0_4arch9wavefront6targetE0EEEvSM_.private_seg_size, 0
	.set _ZN7rocprim17ROCPRIM_400000_NS6detail17trampoline_kernelINS0_14default_configENS1_22reduce_config_selectorIfEEZNS1_11reduce_implILb1ES3_N6thrust23THRUST_200600_302600_NS11hip_rocprim26transform_input_iterator_tIfNS8_17counting_iteratorIiNS8_11use_defaultESC_SC_EE11estimate_piEEPffNS8_4plusIfEEEE10hipError_tPvRmT1_T2_T3_mT4_P12ihipStream_tbEUlT_E1_NS1_11comp_targetILNS1_3genE0ELNS1_11target_archE4294967295ELNS1_3gpuE0ELNS1_3repE0EEENS1_30default_config_static_selectorELNS0_4arch9wavefront6targetE0EEEvSM_.uses_vcc, 0
	.set _ZN7rocprim17ROCPRIM_400000_NS6detail17trampoline_kernelINS0_14default_configENS1_22reduce_config_selectorIfEEZNS1_11reduce_implILb1ES3_N6thrust23THRUST_200600_302600_NS11hip_rocprim26transform_input_iterator_tIfNS8_17counting_iteratorIiNS8_11use_defaultESC_SC_EE11estimate_piEEPffNS8_4plusIfEEEE10hipError_tPvRmT1_T2_T3_mT4_P12ihipStream_tbEUlT_E1_NS1_11comp_targetILNS1_3genE0ELNS1_11target_archE4294967295ELNS1_3gpuE0ELNS1_3repE0EEENS1_30default_config_static_selectorELNS0_4arch9wavefront6targetE0EEEvSM_.uses_flat_scratch, 0
	.set _ZN7rocprim17ROCPRIM_400000_NS6detail17trampoline_kernelINS0_14default_configENS1_22reduce_config_selectorIfEEZNS1_11reduce_implILb1ES3_N6thrust23THRUST_200600_302600_NS11hip_rocprim26transform_input_iterator_tIfNS8_17counting_iteratorIiNS8_11use_defaultESC_SC_EE11estimate_piEEPffNS8_4plusIfEEEE10hipError_tPvRmT1_T2_T3_mT4_P12ihipStream_tbEUlT_E1_NS1_11comp_targetILNS1_3genE0ELNS1_11target_archE4294967295ELNS1_3gpuE0ELNS1_3repE0EEENS1_30default_config_static_selectorELNS0_4arch9wavefront6targetE0EEEvSM_.has_dyn_sized_stack, 0
	.set _ZN7rocprim17ROCPRIM_400000_NS6detail17trampoline_kernelINS0_14default_configENS1_22reduce_config_selectorIfEEZNS1_11reduce_implILb1ES3_N6thrust23THRUST_200600_302600_NS11hip_rocprim26transform_input_iterator_tIfNS8_17counting_iteratorIiNS8_11use_defaultESC_SC_EE11estimate_piEEPffNS8_4plusIfEEEE10hipError_tPvRmT1_T2_T3_mT4_P12ihipStream_tbEUlT_E1_NS1_11comp_targetILNS1_3genE0ELNS1_11target_archE4294967295ELNS1_3gpuE0ELNS1_3repE0EEENS1_30default_config_static_selectorELNS0_4arch9wavefront6targetE0EEEvSM_.has_recursion, 0
	.set _ZN7rocprim17ROCPRIM_400000_NS6detail17trampoline_kernelINS0_14default_configENS1_22reduce_config_selectorIfEEZNS1_11reduce_implILb1ES3_N6thrust23THRUST_200600_302600_NS11hip_rocprim26transform_input_iterator_tIfNS8_17counting_iteratorIiNS8_11use_defaultESC_SC_EE11estimate_piEEPffNS8_4plusIfEEEE10hipError_tPvRmT1_T2_T3_mT4_P12ihipStream_tbEUlT_E1_NS1_11comp_targetILNS1_3genE0ELNS1_11target_archE4294967295ELNS1_3gpuE0ELNS1_3repE0EEENS1_30default_config_static_selectorELNS0_4arch9wavefront6targetE0EEEvSM_.has_indirect_call, 0
	.section	.AMDGPU.csdata,"",@progbits
; Kernel info:
; codeLenInByte = 0
; TotalNumSgprs: 0
; NumVgprs: 0
; ScratchSize: 0
; MemoryBound: 0
; FloatMode: 240
; IeeeMode: 1
; LDSByteSize: 0 bytes/workgroup (compile time only)
; SGPRBlocks: 0
; VGPRBlocks: 0
; NumSGPRsForWavesPerEU: 1
; NumVGPRsForWavesPerEU: 1
; Occupancy: 16
; WaveLimiterHint : 0
; COMPUTE_PGM_RSRC2:SCRATCH_EN: 0
; COMPUTE_PGM_RSRC2:USER_SGPR: 6
; COMPUTE_PGM_RSRC2:TRAP_HANDLER: 0
; COMPUTE_PGM_RSRC2:TGID_X_EN: 1
; COMPUTE_PGM_RSRC2:TGID_Y_EN: 0
; COMPUTE_PGM_RSRC2:TGID_Z_EN: 0
; COMPUTE_PGM_RSRC2:TIDIG_COMP_CNT: 0
	.section	.text._ZN7rocprim17ROCPRIM_400000_NS6detail17trampoline_kernelINS0_14default_configENS1_22reduce_config_selectorIfEEZNS1_11reduce_implILb1ES3_N6thrust23THRUST_200600_302600_NS11hip_rocprim26transform_input_iterator_tIfNS8_17counting_iteratorIiNS8_11use_defaultESC_SC_EE11estimate_piEEPffNS8_4plusIfEEEE10hipError_tPvRmT1_T2_T3_mT4_P12ihipStream_tbEUlT_E1_NS1_11comp_targetILNS1_3genE5ELNS1_11target_archE942ELNS1_3gpuE9ELNS1_3repE0EEENS1_30default_config_static_selectorELNS0_4arch9wavefront6targetE0EEEvSM_,"axG",@progbits,_ZN7rocprim17ROCPRIM_400000_NS6detail17trampoline_kernelINS0_14default_configENS1_22reduce_config_selectorIfEEZNS1_11reduce_implILb1ES3_N6thrust23THRUST_200600_302600_NS11hip_rocprim26transform_input_iterator_tIfNS8_17counting_iteratorIiNS8_11use_defaultESC_SC_EE11estimate_piEEPffNS8_4plusIfEEEE10hipError_tPvRmT1_T2_T3_mT4_P12ihipStream_tbEUlT_E1_NS1_11comp_targetILNS1_3genE5ELNS1_11target_archE942ELNS1_3gpuE9ELNS1_3repE0EEENS1_30default_config_static_selectorELNS0_4arch9wavefront6targetE0EEEvSM_,comdat
	.protected	_ZN7rocprim17ROCPRIM_400000_NS6detail17trampoline_kernelINS0_14default_configENS1_22reduce_config_selectorIfEEZNS1_11reduce_implILb1ES3_N6thrust23THRUST_200600_302600_NS11hip_rocprim26transform_input_iterator_tIfNS8_17counting_iteratorIiNS8_11use_defaultESC_SC_EE11estimate_piEEPffNS8_4plusIfEEEE10hipError_tPvRmT1_T2_T3_mT4_P12ihipStream_tbEUlT_E1_NS1_11comp_targetILNS1_3genE5ELNS1_11target_archE942ELNS1_3gpuE9ELNS1_3repE0EEENS1_30default_config_static_selectorELNS0_4arch9wavefront6targetE0EEEvSM_ ; -- Begin function _ZN7rocprim17ROCPRIM_400000_NS6detail17trampoline_kernelINS0_14default_configENS1_22reduce_config_selectorIfEEZNS1_11reduce_implILb1ES3_N6thrust23THRUST_200600_302600_NS11hip_rocprim26transform_input_iterator_tIfNS8_17counting_iteratorIiNS8_11use_defaultESC_SC_EE11estimate_piEEPffNS8_4plusIfEEEE10hipError_tPvRmT1_T2_T3_mT4_P12ihipStream_tbEUlT_E1_NS1_11comp_targetILNS1_3genE5ELNS1_11target_archE942ELNS1_3gpuE9ELNS1_3repE0EEENS1_30default_config_static_selectorELNS0_4arch9wavefront6targetE0EEEvSM_
	.globl	_ZN7rocprim17ROCPRIM_400000_NS6detail17trampoline_kernelINS0_14default_configENS1_22reduce_config_selectorIfEEZNS1_11reduce_implILb1ES3_N6thrust23THRUST_200600_302600_NS11hip_rocprim26transform_input_iterator_tIfNS8_17counting_iteratorIiNS8_11use_defaultESC_SC_EE11estimate_piEEPffNS8_4plusIfEEEE10hipError_tPvRmT1_T2_T3_mT4_P12ihipStream_tbEUlT_E1_NS1_11comp_targetILNS1_3genE5ELNS1_11target_archE942ELNS1_3gpuE9ELNS1_3repE0EEENS1_30default_config_static_selectorELNS0_4arch9wavefront6targetE0EEEvSM_
	.p2align	8
	.type	_ZN7rocprim17ROCPRIM_400000_NS6detail17trampoline_kernelINS0_14default_configENS1_22reduce_config_selectorIfEEZNS1_11reduce_implILb1ES3_N6thrust23THRUST_200600_302600_NS11hip_rocprim26transform_input_iterator_tIfNS8_17counting_iteratorIiNS8_11use_defaultESC_SC_EE11estimate_piEEPffNS8_4plusIfEEEE10hipError_tPvRmT1_T2_T3_mT4_P12ihipStream_tbEUlT_E1_NS1_11comp_targetILNS1_3genE5ELNS1_11target_archE942ELNS1_3gpuE9ELNS1_3repE0EEENS1_30default_config_static_selectorELNS0_4arch9wavefront6targetE0EEEvSM_,@function
_ZN7rocprim17ROCPRIM_400000_NS6detail17trampoline_kernelINS0_14default_configENS1_22reduce_config_selectorIfEEZNS1_11reduce_implILb1ES3_N6thrust23THRUST_200600_302600_NS11hip_rocprim26transform_input_iterator_tIfNS8_17counting_iteratorIiNS8_11use_defaultESC_SC_EE11estimate_piEEPffNS8_4plusIfEEEE10hipError_tPvRmT1_T2_T3_mT4_P12ihipStream_tbEUlT_E1_NS1_11comp_targetILNS1_3genE5ELNS1_11target_archE942ELNS1_3gpuE9ELNS1_3repE0EEENS1_30default_config_static_selectorELNS0_4arch9wavefront6targetE0EEEvSM_: ; @_ZN7rocprim17ROCPRIM_400000_NS6detail17trampoline_kernelINS0_14default_configENS1_22reduce_config_selectorIfEEZNS1_11reduce_implILb1ES3_N6thrust23THRUST_200600_302600_NS11hip_rocprim26transform_input_iterator_tIfNS8_17counting_iteratorIiNS8_11use_defaultESC_SC_EE11estimate_piEEPffNS8_4plusIfEEEE10hipError_tPvRmT1_T2_T3_mT4_P12ihipStream_tbEUlT_E1_NS1_11comp_targetILNS1_3genE5ELNS1_11target_archE942ELNS1_3gpuE9ELNS1_3repE0EEENS1_30default_config_static_selectorELNS0_4arch9wavefront6targetE0EEEvSM_
; %bb.0:
	.section	.rodata,"a",@progbits
	.p2align	6, 0x0
	.amdhsa_kernel _ZN7rocprim17ROCPRIM_400000_NS6detail17trampoline_kernelINS0_14default_configENS1_22reduce_config_selectorIfEEZNS1_11reduce_implILb1ES3_N6thrust23THRUST_200600_302600_NS11hip_rocprim26transform_input_iterator_tIfNS8_17counting_iteratorIiNS8_11use_defaultESC_SC_EE11estimate_piEEPffNS8_4plusIfEEEE10hipError_tPvRmT1_T2_T3_mT4_P12ihipStream_tbEUlT_E1_NS1_11comp_targetILNS1_3genE5ELNS1_11target_archE942ELNS1_3gpuE9ELNS1_3repE0EEENS1_30default_config_static_selectorELNS0_4arch9wavefront6targetE0EEEvSM_
		.amdhsa_group_segment_fixed_size 0
		.amdhsa_private_segment_fixed_size 0
		.amdhsa_kernarg_size 40
		.amdhsa_user_sgpr_count 6
		.amdhsa_user_sgpr_private_segment_buffer 1
		.amdhsa_user_sgpr_dispatch_ptr 0
		.amdhsa_user_sgpr_queue_ptr 0
		.amdhsa_user_sgpr_kernarg_segment_ptr 1
		.amdhsa_user_sgpr_dispatch_id 0
		.amdhsa_user_sgpr_flat_scratch_init 0
		.amdhsa_user_sgpr_private_segment_size 0
		.amdhsa_wavefront_size32 1
		.amdhsa_uses_dynamic_stack 0
		.amdhsa_system_sgpr_private_segment_wavefront_offset 0
		.amdhsa_system_sgpr_workgroup_id_x 1
		.amdhsa_system_sgpr_workgroup_id_y 0
		.amdhsa_system_sgpr_workgroup_id_z 0
		.amdhsa_system_sgpr_workgroup_info 0
		.amdhsa_system_vgpr_workitem_id 0
		.amdhsa_next_free_vgpr 1
		.amdhsa_next_free_sgpr 1
		.amdhsa_reserve_vcc 0
		.amdhsa_reserve_flat_scratch 0
		.amdhsa_float_round_mode_32 0
		.amdhsa_float_round_mode_16_64 0
		.amdhsa_float_denorm_mode_32 3
		.amdhsa_float_denorm_mode_16_64 3
		.amdhsa_dx10_clamp 1
		.amdhsa_ieee_mode 1
		.amdhsa_fp16_overflow 0
		.amdhsa_workgroup_processor_mode 1
		.amdhsa_memory_ordered 1
		.amdhsa_forward_progress 1
		.amdhsa_shared_vgpr_count 0
		.amdhsa_exception_fp_ieee_invalid_op 0
		.amdhsa_exception_fp_denorm_src 0
		.amdhsa_exception_fp_ieee_div_zero 0
		.amdhsa_exception_fp_ieee_overflow 0
		.amdhsa_exception_fp_ieee_underflow 0
		.amdhsa_exception_fp_ieee_inexact 0
		.amdhsa_exception_int_div_zero 0
	.end_amdhsa_kernel
	.section	.text._ZN7rocprim17ROCPRIM_400000_NS6detail17trampoline_kernelINS0_14default_configENS1_22reduce_config_selectorIfEEZNS1_11reduce_implILb1ES3_N6thrust23THRUST_200600_302600_NS11hip_rocprim26transform_input_iterator_tIfNS8_17counting_iteratorIiNS8_11use_defaultESC_SC_EE11estimate_piEEPffNS8_4plusIfEEEE10hipError_tPvRmT1_T2_T3_mT4_P12ihipStream_tbEUlT_E1_NS1_11comp_targetILNS1_3genE5ELNS1_11target_archE942ELNS1_3gpuE9ELNS1_3repE0EEENS1_30default_config_static_selectorELNS0_4arch9wavefront6targetE0EEEvSM_,"axG",@progbits,_ZN7rocprim17ROCPRIM_400000_NS6detail17trampoline_kernelINS0_14default_configENS1_22reduce_config_selectorIfEEZNS1_11reduce_implILb1ES3_N6thrust23THRUST_200600_302600_NS11hip_rocprim26transform_input_iterator_tIfNS8_17counting_iteratorIiNS8_11use_defaultESC_SC_EE11estimate_piEEPffNS8_4plusIfEEEE10hipError_tPvRmT1_T2_T3_mT4_P12ihipStream_tbEUlT_E1_NS1_11comp_targetILNS1_3genE5ELNS1_11target_archE942ELNS1_3gpuE9ELNS1_3repE0EEENS1_30default_config_static_selectorELNS0_4arch9wavefront6targetE0EEEvSM_,comdat
.Lfunc_end28:
	.size	_ZN7rocprim17ROCPRIM_400000_NS6detail17trampoline_kernelINS0_14default_configENS1_22reduce_config_selectorIfEEZNS1_11reduce_implILb1ES3_N6thrust23THRUST_200600_302600_NS11hip_rocprim26transform_input_iterator_tIfNS8_17counting_iteratorIiNS8_11use_defaultESC_SC_EE11estimate_piEEPffNS8_4plusIfEEEE10hipError_tPvRmT1_T2_T3_mT4_P12ihipStream_tbEUlT_E1_NS1_11comp_targetILNS1_3genE5ELNS1_11target_archE942ELNS1_3gpuE9ELNS1_3repE0EEENS1_30default_config_static_selectorELNS0_4arch9wavefront6targetE0EEEvSM_, .Lfunc_end28-_ZN7rocprim17ROCPRIM_400000_NS6detail17trampoline_kernelINS0_14default_configENS1_22reduce_config_selectorIfEEZNS1_11reduce_implILb1ES3_N6thrust23THRUST_200600_302600_NS11hip_rocprim26transform_input_iterator_tIfNS8_17counting_iteratorIiNS8_11use_defaultESC_SC_EE11estimate_piEEPffNS8_4plusIfEEEE10hipError_tPvRmT1_T2_T3_mT4_P12ihipStream_tbEUlT_E1_NS1_11comp_targetILNS1_3genE5ELNS1_11target_archE942ELNS1_3gpuE9ELNS1_3repE0EEENS1_30default_config_static_selectorELNS0_4arch9wavefront6targetE0EEEvSM_
                                        ; -- End function
	.set _ZN7rocprim17ROCPRIM_400000_NS6detail17trampoline_kernelINS0_14default_configENS1_22reduce_config_selectorIfEEZNS1_11reduce_implILb1ES3_N6thrust23THRUST_200600_302600_NS11hip_rocprim26transform_input_iterator_tIfNS8_17counting_iteratorIiNS8_11use_defaultESC_SC_EE11estimate_piEEPffNS8_4plusIfEEEE10hipError_tPvRmT1_T2_T3_mT4_P12ihipStream_tbEUlT_E1_NS1_11comp_targetILNS1_3genE5ELNS1_11target_archE942ELNS1_3gpuE9ELNS1_3repE0EEENS1_30default_config_static_selectorELNS0_4arch9wavefront6targetE0EEEvSM_.num_vgpr, 0
	.set _ZN7rocprim17ROCPRIM_400000_NS6detail17trampoline_kernelINS0_14default_configENS1_22reduce_config_selectorIfEEZNS1_11reduce_implILb1ES3_N6thrust23THRUST_200600_302600_NS11hip_rocprim26transform_input_iterator_tIfNS8_17counting_iteratorIiNS8_11use_defaultESC_SC_EE11estimate_piEEPffNS8_4plusIfEEEE10hipError_tPvRmT1_T2_T3_mT4_P12ihipStream_tbEUlT_E1_NS1_11comp_targetILNS1_3genE5ELNS1_11target_archE942ELNS1_3gpuE9ELNS1_3repE0EEENS1_30default_config_static_selectorELNS0_4arch9wavefront6targetE0EEEvSM_.num_agpr, 0
	.set _ZN7rocprim17ROCPRIM_400000_NS6detail17trampoline_kernelINS0_14default_configENS1_22reduce_config_selectorIfEEZNS1_11reduce_implILb1ES3_N6thrust23THRUST_200600_302600_NS11hip_rocprim26transform_input_iterator_tIfNS8_17counting_iteratorIiNS8_11use_defaultESC_SC_EE11estimate_piEEPffNS8_4plusIfEEEE10hipError_tPvRmT1_T2_T3_mT4_P12ihipStream_tbEUlT_E1_NS1_11comp_targetILNS1_3genE5ELNS1_11target_archE942ELNS1_3gpuE9ELNS1_3repE0EEENS1_30default_config_static_selectorELNS0_4arch9wavefront6targetE0EEEvSM_.numbered_sgpr, 0
	.set _ZN7rocprim17ROCPRIM_400000_NS6detail17trampoline_kernelINS0_14default_configENS1_22reduce_config_selectorIfEEZNS1_11reduce_implILb1ES3_N6thrust23THRUST_200600_302600_NS11hip_rocprim26transform_input_iterator_tIfNS8_17counting_iteratorIiNS8_11use_defaultESC_SC_EE11estimate_piEEPffNS8_4plusIfEEEE10hipError_tPvRmT1_T2_T3_mT4_P12ihipStream_tbEUlT_E1_NS1_11comp_targetILNS1_3genE5ELNS1_11target_archE942ELNS1_3gpuE9ELNS1_3repE0EEENS1_30default_config_static_selectorELNS0_4arch9wavefront6targetE0EEEvSM_.num_named_barrier, 0
	.set _ZN7rocprim17ROCPRIM_400000_NS6detail17trampoline_kernelINS0_14default_configENS1_22reduce_config_selectorIfEEZNS1_11reduce_implILb1ES3_N6thrust23THRUST_200600_302600_NS11hip_rocprim26transform_input_iterator_tIfNS8_17counting_iteratorIiNS8_11use_defaultESC_SC_EE11estimate_piEEPffNS8_4plusIfEEEE10hipError_tPvRmT1_T2_T3_mT4_P12ihipStream_tbEUlT_E1_NS1_11comp_targetILNS1_3genE5ELNS1_11target_archE942ELNS1_3gpuE9ELNS1_3repE0EEENS1_30default_config_static_selectorELNS0_4arch9wavefront6targetE0EEEvSM_.private_seg_size, 0
	.set _ZN7rocprim17ROCPRIM_400000_NS6detail17trampoline_kernelINS0_14default_configENS1_22reduce_config_selectorIfEEZNS1_11reduce_implILb1ES3_N6thrust23THRUST_200600_302600_NS11hip_rocprim26transform_input_iterator_tIfNS8_17counting_iteratorIiNS8_11use_defaultESC_SC_EE11estimate_piEEPffNS8_4plusIfEEEE10hipError_tPvRmT1_T2_T3_mT4_P12ihipStream_tbEUlT_E1_NS1_11comp_targetILNS1_3genE5ELNS1_11target_archE942ELNS1_3gpuE9ELNS1_3repE0EEENS1_30default_config_static_selectorELNS0_4arch9wavefront6targetE0EEEvSM_.uses_vcc, 0
	.set _ZN7rocprim17ROCPRIM_400000_NS6detail17trampoline_kernelINS0_14default_configENS1_22reduce_config_selectorIfEEZNS1_11reduce_implILb1ES3_N6thrust23THRUST_200600_302600_NS11hip_rocprim26transform_input_iterator_tIfNS8_17counting_iteratorIiNS8_11use_defaultESC_SC_EE11estimate_piEEPffNS8_4plusIfEEEE10hipError_tPvRmT1_T2_T3_mT4_P12ihipStream_tbEUlT_E1_NS1_11comp_targetILNS1_3genE5ELNS1_11target_archE942ELNS1_3gpuE9ELNS1_3repE0EEENS1_30default_config_static_selectorELNS0_4arch9wavefront6targetE0EEEvSM_.uses_flat_scratch, 0
	.set _ZN7rocprim17ROCPRIM_400000_NS6detail17trampoline_kernelINS0_14default_configENS1_22reduce_config_selectorIfEEZNS1_11reduce_implILb1ES3_N6thrust23THRUST_200600_302600_NS11hip_rocprim26transform_input_iterator_tIfNS8_17counting_iteratorIiNS8_11use_defaultESC_SC_EE11estimate_piEEPffNS8_4plusIfEEEE10hipError_tPvRmT1_T2_T3_mT4_P12ihipStream_tbEUlT_E1_NS1_11comp_targetILNS1_3genE5ELNS1_11target_archE942ELNS1_3gpuE9ELNS1_3repE0EEENS1_30default_config_static_selectorELNS0_4arch9wavefront6targetE0EEEvSM_.has_dyn_sized_stack, 0
	.set _ZN7rocprim17ROCPRIM_400000_NS6detail17trampoline_kernelINS0_14default_configENS1_22reduce_config_selectorIfEEZNS1_11reduce_implILb1ES3_N6thrust23THRUST_200600_302600_NS11hip_rocprim26transform_input_iterator_tIfNS8_17counting_iteratorIiNS8_11use_defaultESC_SC_EE11estimate_piEEPffNS8_4plusIfEEEE10hipError_tPvRmT1_T2_T3_mT4_P12ihipStream_tbEUlT_E1_NS1_11comp_targetILNS1_3genE5ELNS1_11target_archE942ELNS1_3gpuE9ELNS1_3repE0EEENS1_30default_config_static_selectorELNS0_4arch9wavefront6targetE0EEEvSM_.has_recursion, 0
	.set _ZN7rocprim17ROCPRIM_400000_NS6detail17trampoline_kernelINS0_14default_configENS1_22reduce_config_selectorIfEEZNS1_11reduce_implILb1ES3_N6thrust23THRUST_200600_302600_NS11hip_rocprim26transform_input_iterator_tIfNS8_17counting_iteratorIiNS8_11use_defaultESC_SC_EE11estimate_piEEPffNS8_4plusIfEEEE10hipError_tPvRmT1_T2_T3_mT4_P12ihipStream_tbEUlT_E1_NS1_11comp_targetILNS1_3genE5ELNS1_11target_archE942ELNS1_3gpuE9ELNS1_3repE0EEENS1_30default_config_static_selectorELNS0_4arch9wavefront6targetE0EEEvSM_.has_indirect_call, 0
	.section	.AMDGPU.csdata,"",@progbits
; Kernel info:
; codeLenInByte = 0
; TotalNumSgprs: 0
; NumVgprs: 0
; ScratchSize: 0
; MemoryBound: 0
; FloatMode: 240
; IeeeMode: 1
; LDSByteSize: 0 bytes/workgroup (compile time only)
; SGPRBlocks: 0
; VGPRBlocks: 0
; NumSGPRsForWavesPerEU: 1
; NumVGPRsForWavesPerEU: 1
; Occupancy: 16
; WaveLimiterHint : 0
; COMPUTE_PGM_RSRC2:SCRATCH_EN: 0
; COMPUTE_PGM_RSRC2:USER_SGPR: 6
; COMPUTE_PGM_RSRC2:TRAP_HANDLER: 0
; COMPUTE_PGM_RSRC2:TGID_X_EN: 1
; COMPUTE_PGM_RSRC2:TGID_Y_EN: 0
; COMPUTE_PGM_RSRC2:TGID_Z_EN: 0
; COMPUTE_PGM_RSRC2:TIDIG_COMP_CNT: 0
	.section	.text._ZN7rocprim17ROCPRIM_400000_NS6detail17trampoline_kernelINS0_14default_configENS1_22reduce_config_selectorIfEEZNS1_11reduce_implILb1ES3_N6thrust23THRUST_200600_302600_NS11hip_rocprim26transform_input_iterator_tIfNS8_17counting_iteratorIiNS8_11use_defaultESC_SC_EE11estimate_piEEPffNS8_4plusIfEEEE10hipError_tPvRmT1_T2_T3_mT4_P12ihipStream_tbEUlT_E1_NS1_11comp_targetILNS1_3genE4ELNS1_11target_archE910ELNS1_3gpuE8ELNS1_3repE0EEENS1_30default_config_static_selectorELNS0_4arch9wavefront6targetE0EEEvSM_,"axG",@progbits,_ZN7rocprim17ROCPRIM_400000_NS6detail17trampoline_kernelINS0_14default_configENS1_22reduce_config_selectorIfEEZNS1_11reduce_implILb1ES3_N6thrust23THRUST_200600_302600_NS11hip_rocprim26transform_input_iterator_tIfNS8_17counting_iteratorIiNS8_11use_defaultESC_SC_EE11estimate_piEEPffNS8_4plusIfEEEE10hipError_tPvRmT1_T2_T3_mT4_P12ihipStream_tbEUlT_E1_NS1_11comp_targetILNS1_3genE4ELNS1_11target_archE910ELNS1_3gpuE8ELNS1_3repE0EEENS1_30default_config_static_selectorELNS0_4arch9wavefront6targetE0EEEvSM_,comdat
	.protected	_ZN7rocprim17ROCPRIM_400000_NS6detail17trampoline_kernelINS0_14default_configENS1_22reduce_config_selectorIfEEZNS1_11reduce_implILb1ES3_N6thrust23THRUST_200600_302600_NS11hip_rocprim26transform_input_iterator_tIfNS8_17counting_iteratorIiNS8_11use_defaultESC_SC_EE11estimate_piEEPffNS8_4plusIfEEEE10hipError_tPvRmT1_T2_T3_mT4_P12ihipStream_tbEUlT_E1_NS1_11comp_targetILNS1_3genE4ELNS1_11target_archE910ELNS1_3gpuE8ELNS1_3repE0EEENS1_30default_config_static_selectorELNS0_4arch9wavefront6targetE0EEEvSM_ ; -- Begin function _ZN7rocprim17ROCPRIM_400000_NS6detail17trampoline_kernelINS0_14default_configENS1_22reduce_config_selectorIfEEZNS1_11reduce_implILb1ES3_N6thrust23THRUST_200600_302600_NS11hip_rocprim26transform_input_iterator_tIfNS8_17counting_iteratorIiNS8_11use_defaultESC_SC_EE11estimate_piEEPffNS8_4plusIfEEEE10hipError_tPvRmT1_T2_T3_mT4_P12ihipStream_tbEUlT_E1_NS1_11comp_targetILNS1_3genE4ELNS1_11target_archE910ELNS1_3gpuE8ELNS1_3repE0EEENS1_30default_config_static_selectorELNS0_4arch9wavefront6targetE0EEEvSM_
	.globl	_ZN7rocprim17ROCPRIM_400000_NS6detail17trampoline_kernelINS0_14default_configENS1_22reduce_config_selectorIfEEZNS1_11reduce_implILb1ES3_N6thrust23THRUST_200600_302600_NS11hip_rocprim26transform_input_iterator_tIfNS8_17counting_iteratorIiNS8_11use_defaultESC_SC_EE11estimate_piEEPffNS8_4plusIfEEEE10hipError_tPvRmT1_T2_T3_mT4_P12ihipStream_tbEUlT_E1_NS1_11comp_targetILNS1_3genE4ELNS1_11target_archE910ELNS1_3gpuE8ELNS1_3repE0EEENS1_30default_config_static_selectorELNS0_4arch9wavefront6targetE0EEEvSM_
	.p2align	8
	.type	_ZN7rocprim17ROCPRIM_400000_NS6detail17trampoline_kernelINS0_14default_configENS1_22reduce_config_selectorIfEEZNS1_11reduce_implILb1ES3_N6thrust23THRUST_200600_302600_NS11hip_rocprim26transform_input_iterator_tIfNS8_17counting_iteratorIiNS8_11use_defaultESC_SC_EE11estimate_piEEPffNS8_4plusIfEEEE10hipError_tPvRmT1_T2_T3_mT4_P12ihipStream_tbEUlT_E1_NS1_11comp_targetILNS1_3genE4ELNS1_11target_archE910ELNS1_3gpuE8ELNS1_3repE0EEENS1_30default_config_static_selectorELNS0_4arch9wavefront6targetE0EEEvSM_,@function
_ZN7rocprim17ROCPRIM_400000_NS6detail17trampoline_kernelINS0_14default_configENS1_22reduce_config_selectorIfEEZNS1_11reduce_implILb1ES3_N6thrust23THRUST_200600_302600_NS11hip_rocprim26transform_input_iterator_tIfNS8_17counting_iteratorIiNS8_11use_defaultESC_SC_EE11estimate_piEEPffNS8_4plusIfEEEE10hipError_tPvRmT1_T2_T3_mT4_P12ihipStream_tbEUlT_E1_NS1_11comp_targetILNS1_3genE4ELNS1_11target_archE910ELNS1_3gpuE8ELNS1_3repE0EEENS1_30default_config_static_selectorELNS0_4arch9wavefront6targetE0EEEvSM_: ; @_ZN7rocprim17ROCPRIM_400000_NS6detail17trampoline_kernelINS0_14default_configENS1_22reduce_config_selectorIfEEZNS1_11reduce_implILb1ES3_N6thrust23THRUST_200600_302600_NS11hip_rocprim26transform_input_iterator_tIfNS8_17counting_iteratorIiNS8_11use_defaultESC_SC_EE11estimate_piEEPffNS8_4plusIfEEEE10hipError_tPvRmT1_T2_T3_mT4_P12ihipStream_tbEUlT_E1_NS1_11comp_targetILNS1_3genE4ELNS1_11target_archE910ELNS1_3gpuE8ELNS1_3repE0EEENS1_30default_config_static_selectorELNS0_4arch9wavefront6targetE0EEEvSM_
; %bb.0:
	.section	.rodata,"a",@progbits
	.p2align	6, 0x0
	.amdhsa_kernel _ZN7rocprim17ROCPRIM_400000_NS6detail17trampoline_kernelINS0_14default_configENS1_22reduce_config_selectorIfEEZNS1_11reduce_implILb1ES3_N6thrust23THRUST_200600_302600_NS11hip_rocprim26transform_input_iterator_tIfNS8_17counting_iteratorIiNS8_11use_defaultESC_SC_EE11estimate_piEEPffNS8_4plusIfEEEE10hipError_tPvRmT1_T2_T3_mT4_P12ihipStream_tbEUlT_E1_NS1_11comp_targetILNS1_3genE4ELNS1_11target_archE910ELNS1_3gpuE8ELNS1_3repE0EEENS1_30default_config_static_selectorELNS0_4arch9wavefront6targetE0EEEvSM_
		.amdhsa_group_segment_fixed_size 0
		.amdhsa_private_segment_fixed_size 0
		.amdhsa_kernarg_size 40
		.amdhsa_user_sgpr_count 6
		.amdhsa_user_sgpr_private_segment_buffer 1
		.amdhsa_user_sgpr_dispatch_ptr 0
		.amdhsa_user_sgpr_queue_ptr 0
		.amdhsa_user_sgpr_kernarg_segment_ptr 1
		.amdhsa_user_sgpr_dispatch_id 0
		.amdhsa_user_sgpr_flat_scratch_init 0
		.amdhsa_user_sgpr_private_segment_size 0
		.amdhsa_wavefront_size32 1
		.amdhsa_uses_dynamic_stack 0
		.amdhsa_system_sgpr_private_segment_wavefront_offset 0
		.amdhsa_system_sgpr_workgroup_id_x 1
		.amdhsa_system_sgpr_workgroup_id_y 0
		.amdhsa_system_sgpr_workgroup_id_z 0
		.amdhsa_system_sgpr_workgroup_info 0
		.amdhsa_system_vgpr_workitem_id 0
		.amdhsa_next_free_vgpr 1
		.amdhsa_next_free_sgpr 1
		.amdhsa_reserve_vcc 0
		.amdhsa_reserve_flat_scratch 0
		.amdhsa_float_round_mode_32 0
		.amdhsa_float_round_mode_16_64 0
		.amdhsa_float_denorm_mode_32 3
		.amdhsa_float_denorm_mode_16_64 3
		.amdhsa_dx10_clamp 1
		.amdhsa_ieee_mode 1
		.amdhsa_fp16_overflow 0
		.amdhsa_workgroup_processor_mode 1
		.amdhsa_memory_ordered 1
		.amdhsa_forward_progress 1
		.amdhsa_shared_vgpr_count 0
		.amdhsa_exception_fp_ieee_invalid_op 0
		.amdhsa_exception_fp_denorm_src 0
		.amdhsa_exception_fp_ieee_div_zero 0
		.amdhsa_exception_fp_ieee_overflow 0
		.amdhsa_exception_fp_ieee_underflow 0
		.amdhsa_exception_fp_ieee_inexact 0
		.amdhsa_exception_int_div_zero 0
	.end_amdhsa_kernel
	.section	.text._ZN7rocprim17ROCPRIM_400000_NS6detail17trampoline_kernelINS0_14default_configENS1_22reduce_config_selectorIfEEZNS1_11reduce_implILb1ES3_N6thrust23THRUST_200600_302600_NS11hip_rocprim26transform_input_iterator_tIfNS8_17counting_iteratorIiNS8_11use_defaultESC_SC_EE11estimate_piEEPffNS8_4plusIfEEEE10hipError_tPvRmT1_T2_T3_mT4_P12ihipStream_tbEUlT_E1_NS1_11comp_targetILNS1_3genE4ELNS1_11target_archE910ELNS1_3gpuE8ELNS1_3repE0EEENS1_30default_config_static_selectorELNS0_4arch9wavefront6targetE0EEEvSM_,"axG",@progbits,_ZN7rocprim17ROCPRIM_400000_NS6detail17trampoline_kernelINS0_14default_configENS1_22reduce_config_selectorIfEEZNS1_11reduce_implILb1ES3_N6thrust23THRUST_200600_302600_NS11hip_rocprim26transform_input_iterator_tIfNS8_17counting_iteratorIiNS8_11use_defaultESC_SC_EE11estimate_piEEPffNS8_4plusIfEEEE10hipError_tPvRmT1_T2_T3_mT4_P12ihipStream_tbEUlT_E1_NS1_11comp_targetILNS1_3genE4ELNS1_11target_archE910ELNS1_3gpuE8ELNS1_3repE0EEENS1_30default_config_static_selectorELNS0_4arch9wavefront6targetE0EEEvSM_,comdat
.Lfunc_end29:
	.size	_ZN7rocprim17ROCPRIM_400000_NS6detail17trampoline_kernelINS0_14default_configENS1_22reduce_config_selectorIfEEZNS1_11reduce_implILb1ES3_N6thrust23THRUST_200600_302600_NS11hip_rocprim26transform_input_iterator_tIfNS8_17counting_iteratorIiNS8_11use_defaultESC_SC_EE11estimate_piEEPffNS8_4plusIfEEEE10hipError_tPvRmT1_T2_T3_mT4_P12ihipStream_tbEUlT_E1_NS1_11comp_targetILNS1_3genE4ELNS1_11target_archE910ELNS1_3gpuE8ELNS1_3repE0EEENS1_30default_config_static_selectorELNS0_4arch9wavefront6targetE0EEEvSM_, .Lfunc_end29-_ZN7rocprim17ROCPRIM_400000_NS6detail17trampoline_kernelINS0_14default_configENS1_22reduce_config_selectorIfEEZNS1_11reduce_implILb1ES3_N6thrust23THRUST_200600_302600_NS11hip_rocprim26transform_input_iterator_tIfNS8_17counting_iteratorIiNS8_11use_defaultESC_SC_EE11estimate_piEEPffNS8_4plusIfEEEE10hipError_tPvRmT1_T2_T3_mT4_P12ihipStream_tbEUlT_E1_NS1_11comp_targetILNS1_3genE4ELNS1_11target_archE910ELNS1_3gpuE8ELNS1_3repE0EEENS1_30default_config_static_selectorELNS0_4arch9wavefront6targetE0EEEvSM_
                                        ; -- End function
	.set _ZN7rocprim17ROCPRIM_400000_NS6detail17trampoline_kernelINS0_14default_configENS1_22reduce_config_selectorIfEEZNS1_11reduce_implILb1ES3_N6thrust23THRUST_200600_302600_NS11hip_rocprim26transform_input_iterator_tIfNS8_17counting_iteratorIiNS8_11use_defaultESC_SC_EE11estimate_piEEPffNS8_4plusIfEEEE10hipError_tPvRmT1_T2_T3_mT4_P12ihipStream_tbEUlT_E1_NS1_11comp_targetILNS1_3genE4ELNS1_11target_archE910ELNS1_3gpuE8ELNS1_3repE0EEENS1_30default_config_static_selectorELNS0_4arch9wavefront6targetE0EEEvSM_.num_vgpr, 0
	.set _ZN7rocprim17ROCPRIM_400000_NS6detail17trampoline_kernelINS0_14default_configENS1_22reduce_config_selectorIfEEZNS1_11reduce_implILb1ES3_N6thrust23THRUST_200600_302600_NS11hip_rocprim26transform_input_iterator_tIfNS8_17counting_iteratorIiNS8_11use_defaultESC_SC_EE11estimate_piEEPffNS8_4plusIfEEEE10hipError_tPvRmT1_T2_T3_mT4_P12ihipStream_tbEUlT_E1_NS1_11comp_targetILNS1_3genE4ELNS1_11target_archE910ELNS1_3gpuE8ELNS1_3repE0EEENS1_30default_config_static_selectorELNS0_4arch9wavefront6targetE0EEEvSM_.num_agpr, 0
	.set _ZN7rocprim17ROCPRIM_400000_NS6detail17trampoline_kernelINS0_14default_configENS1_22reduce_config_selectorIfEEZNS1_11reduce_implILb1ES3_N6thrust23THRUST_200600_302600_NS11hip_rocprim26transform_input_iterator_tIfNS8_17counting_iteratorIiNS8_11use_defaultESC_SC_EE11estimate_piEEPffNS8_4plusIfEEEE10hipError_tPvRmT1_T2_T3_mT4_P12ihipStream_tbEUlT_E1_NS1_11comp_targetILNS1_3genE4ELNS1_11target_archE910ELNS1_3gpuE8ELNS1_3repE0EEENS1_30default_config_static_selectorELNS0_4arch9wavefront6targetE0EEEvSM_.numbered_sgpr, 0
	.set _ZN7rocprim17ROCPRIM_400000_NS6detail17trampoline_kernelINS0_14default_configENS1_22reduce_config_selectorIfEEZNS1_11reduce_implILb1ES3_N6thrust23THRUST_200600_302600_NS11hip_rocprim26transform_input_iterator_tIfNS8_17counting_iteratorIiNS8_11use_defaultESC_SC_EE11estimate_piEEPffNS8_4plusIfEEEE10hipError_tPvRmT1_T2_T3_mT4_P12ihipStream_tbEUlT_E1_NS1_11comp_targetILNS1_3genE4ELNS1_11target_archE910ELNS1_3gpuE8ELNS1_3repE0EEENS1_30default_config_static_selectorELNS0_4arch9wavefront6targetE0EEEvSM_.num_named_barrier, 0
	.set _ZN7rocprim17ROCPRIM_400000_NS6detail17trampoline_kernelINS0_14default_configENS1_22reduce_config_selectorIfEEZNS1_11reduce_implILb1ES3_N6thrust23THRUST_200600_302600_NS11hip_rocprim26transform_input_iterator_tIfNS8_17counting_iteratorIiNS8_11use_defaultESC_SC_EE11estimate_piEEPffNS8_4plusIfEEEE10hipError_tPvRmT1_T2_T3_mT4_P12ihipStream_tbEUlT_E1_NS1_11comp_targetILNS1_3genE4ELNS1_11target_archE910ELNS1_3gpuE8ELNS1_3repE0EEENS1_30default_config_static_selectorELNS0_4arch9wavefront6targetE0EEEvSM_.private_seg_size, 0
	.set _ZN7rocprim17ROCPRIM_400000_NS6detail17trampoline_kernelINS0_14default_configENS1_22reduce_config_selectorIfEEZNS1_11reduce_implILb1ES3_N6thrust23THRUST_200600_302600_NS11hip_rocprim26transform_input_iterator_tIfNS8_17counting_iteratorIiNS8_11use_defaultESC_SC_EE11estimate_piEEPffNS8_4plusIfEEEE10hipError_tPvRmT1_T2_T3_mT4_P12ihipStream_tbEUlT_E1_NS1_11comp_targetILNS1_3genE4ELNS1_11target_archE910ELNS1_3gpuE8ELNS1_3repE0EEENS1_30default_config_static_selectorELNS0_4arch9wavefront6targetE0EEEvSM_.uses_vcc, 0
	.set _ZN7rocprim17ROCPRIM_400000_NS6detail17trampoline_kernelINS0_14default_configENS1_22reduce_config_selectorIfEEZNS1_11reduce_implILb1ES3_N6thrust23THRUST_200600_302600_NS11hip_rocprim26transform_input_iterator_tIfNS8_17counting_iteratorIiNS8_11use_defaultESC_SC_EE11estimate_piEEPffNS8_4plusIfEEEE10hipError_tPvRmT1_T2_T3_mT4_P12ihipStream_tbEUlT_E1_NS1_11comp_targetILNS1_3genE4ELNS1_11target_archE910ELNS1_3gpuE8ELNS1_3repE0EEENS1_30default_config_static_selectorELNS0_4arch9wavefront6targetE0EEEvSM_.uses_flat_scratch, 0
	.set _ZN7rocprim17ROCPRIM_400000_NS6detail17trampoline_kernelINS0_14default_configENS1_22reduce_config_selectorIfEEZNS1_11reduce_implILb1ES3_N6thrust23THRUST_200600_302600_NS11hip_rocprim26transform_input_iterator_tIfNS8_17counting_iteratorIiNS8_11use_defaultESC_SC_EE11estimate_piEEPffNS8_4plusIfEEEE10hipError_tPvRmT1_T2_T3_mT4_P12ihipStream_tbEUlT_E1_NS1_11comp_targetILNS1_3genE4ELNS1_11target_archE910ELNS1_3gpuE8ELNS1_3repE0EEENS1_30default_config_static_selectorELNS0_4arch9wavefront6targetE0EEEvSM_.has_dyn_sized_stack, 0
	.set _ZN7rocprim17ROCPRIM_400000_NS6detail17trampoline_kernelINS0_14default_configENS1_22reduce_config_selectorIfEEZNS1_11reduce_implILb1ES3_N6thrust23THRUST_200600_302600_NS11hip_rocprim26transform_input_iterator_tIfNS8_17counting_iteratorIiNS8_11use_defaultESC_SC_EE11estimate_piEEPffNS8_4plusIfEEEE10hipError_tPvRmT1_T2_T3_mT4_P12ihipStream_tbEUlT_E1_NS1_11comp_targetILNS1_3genE4ELNS1_11target_archE910ELNS1_3gpuE8ELNS1_3repE0EEENS1_30default_config_static_selectorELNS0_4arch9wavefront6targetE0EEEvSM_.has_recursion, 0
	.set _ZN7rocprim17ROCPRIM_400000_NS6detail17trampoline_kernelINS0_14default_configENS1_22reduce_config_selectorIfEEZNS1_11reduce_implILb1ES3_N6thrust23THRUST_200600_302600_NS11hip_rocprim26transform_input_iterator_tIfNS8_17counting_iteratorIiNS8_11use_defaultESC_SC_EE11estimate_piEEPffNS8_4plusIfEEEE10hipError_tPvRmT1_T2_T3_mT4_P12ihipStream_tbEUlT_E1_NS1_11comp_targetILNS1_3genE4ELNS1_11target_archE910ELNS1_3gpuE8ELNS1_3repE0EEENS1_30default_config_static_selectorELNS0_4arch9wavefront6targetE0EEEvSM_.has_indirect_call, 0
	.section	.AMDGPU.csdata,"",@progbits
; Kernel info:
; codeLenInByte = 0
; TotalNumSgprs: 0
; NumVgprs: 0
; ScratchSize: 0
; MemoryBound: 0
; FloatMode: 240
; IeeeMode: 1
; LDSByteSize: 0 bytes/workgroup (compile time only)
; SGPRBlocks: 0
; VGPRBlocks: 0
; NumSGPRsForWavesPerEU: 1
; NumVGPRsForWavesPerEU: 1
; Occupancy: 16
; WaveLimiterHint : 0
; COMPUTE_PGM_RSRC2:SCRATCH_EN: 0
; COMPUTE_PGM_RSRC2:USER_SGPR: 6
; COMPUTE_PGM_RSRC2:TRAP_HANDLER: 0
; COMPUTE_PGM_RSRC2:TGID_X_EN: 1
; COMPUTE_PGM_RSRC2:TGID_Y_EN: 0
; COMPUTE_PGM_RSRC2:TGID_Z_EN: 0
; COMPUTE_PGM_RSRC2:TIDIG_COMP_CNT: 0
	.section	.text._ZN7rocprim17ROCPRIM_400000_NS6detail17trampoline_kernelINS0_14default_configENS1_22reduce_config_selectorIfEEZNS1_11reduce_implILb1ES3_N6thrust23THRUST_200600_302600_NS11hip_rocprim26transform_input_iterator_tIfNS8_17counting_iteratorIiNS8_11use_defaultESC_SC_EE11estimate_piEEPffNS8_4plusIfEEEE10hipError_tPvRmT1_T2_T3_mT4_P12ihipStream_tbEUlT_E1_NS1_11comp_targetILNS1_3genE3ELNS1_11target_archE908ELNS1_3gpuE7ELNS1_3repE0EEENS1_30default_config_static_selectorELNS0_4arch9wavefront6targetE0EEEvSM_,"axG",@progbits,_ZN7rocprim17ROCPRIM_400000_NS6detail17trampoline_kernelINS0_14default_configENS1_22reduce_config_selectorIfEEZNS1_11reduce_implILb1ES3_N6thrust23THRUST_200600_302600_NS11hip_rocprim26transform_input_iterator_tIfNS8_17counting_iteratorIiNS8_11use_defaultESC_SC_EE11estimate_piEEPffNS8_4plusIfEEEE10hipError_tPvRmT1_T2_T3_mT4_P12ihipStream_tbEUlT_E1_NS1_11comp_targetILNS1_3genE3ELNS1_11target_archE908ELNS1_3gpuE7ELNS1_3repE0EEENS1_30default_config_static_selectorELNS0_4arch9wavefront6targetE0EEEvSM_,comdat
	.protected	_ZN7rocprim17ROCPRIM_400000_NS6detail17trampoline_kernelINS0_14default_configENS1_22reduce_config_selectorIfEEZNS1_11reduce_implILb1ES3_N6thrust23THRUST_200600_302600_NS11hip_rocprim26transform_input_iterator_tIfNS8_17counting_iteratorIiNS8_11use_defaultESC_SC_EE11estimate_piEEPffNS8_4plusIfEEEE10hipError_tPvRmT1_T2_T3_mT4_P12ihipStream_tbEUlT_E1_NS1_11comp_targetILNS1_3genE3ELNS1_11target_archE908ELNS1_3gpuE7ELNS1_3repE0EEENS1_30default_config_static_selectorELNS0_4arch9wavefront6targetE0EEEvSM_ ; -- Begin function _ZN7rocprim17ROCPRIM_400000_NS6detail17trampoline_kernelINS0_14default_configENS1_22reduce_config_selectorIfEEZNS1_11reduce_implILb1ES3_N6thrust23THRUST_200600_302600_NS11hip_rocprim26transform_input_iterator_tIfNS8_17counting_iteratorIiNS8_11use_defaultESC_SC_EE11estimate_piEEPffNS8_4plusIfEEEE10hipError_tPvRmT1_T2_T3_mT4_P12ihipStream_tbEUlT_E1_NS1_11comp_targetILNS1_3genE3ELNS1_11target_archE908ELNS1_3gpuE7ELNS1_3repE0EEENS1_30default_config_static_selectorELNS0_4arch9wavefront6targetE0EEEvSM_
	.globl	_ZN7rocprim17ROCPRIM_400000_NS6detail17trampoline_kernelINS0_14default_configENS1_22reduce_config_selectorIfEEZNS1_11reduce_implILb1ES3_N6thrust23THRUST_200600_302600_NS11hip_rocprim26transform_input_iterator_tIfNS8_17counting_iteratorIiNS8_11use_defaultESC_SC_EE11estimate_piEEPffNS8_4plusIfEEEE10hipError_tPvRmT1_T2_T3_mT4_P12ihipStream_tbEUlT_E1_NS1_11comp_targetILNS1_3genE3ELNS1_11target_archE908ELNS1_3gpuE7ELNS1_3repE0EEENS1_30default_config_static_selectorELNS0_4arch9wavefront6targetE0EEEvSM_
	.p2align	8
	.type	_ZN7rocprim17ROCPRIM_400000_NS6detail17trampoline_kernelINS0_14default_configENS1_22reduce_config_selectorIfEEZNS1_11reduce_implILb1ES3_N6thrust23THRUST_200600_302600_NS11hip_rocprim26transform_input_iterator_tIfNS8_17counting_iteratorIiNS8_11use_defaultESC_SC_EE11estimate_piEEPffNS8_4plusIfEEEE10hipError_tPvRmT1_T2_T3_mT4_P12ihipStream_tbEUlT_E1_NS1_11comp_targetILNS1_3genE3ELNS1_11target_archE908ELNS1_3gpuE7ELNS1_3repE0EEENS1_30default_config_static_selectorELNS0_4arch9wavefront6targetE0EEEvSM_,@function
_ZN7rocprim17ROCPRIM_400000_NS6detail17trampoline_kernelINS0_14default_configENS1_22reduce_config_selectorIfEEZNS1_11reduce_implILb1ES3_N6thrust23THRUST_200600_302600_NS11hip_rocprim26transform_input_iterator_tIfNS8_17counting_iteratorIiNS8_11use_defaultESC_SC_EE11estimate_piEEPffNS8_4plusIfEEEE10hipError_tPvRmT1_T2_T3_mT4_P12ihipStream_tbEUlT_E1_NS1_11comp_targetILNS1_3genE3ELNS1_11target_archE908ELNS1_3gpuE7ELNS1_3repE0EEENS1_30default_config_static_selectorELNS0_4arch9wavefront6targetE0EEEvSM_: ; @_ZN7rocprim17ROCPRIM_400000_NS6detail17trampoline_kernelINS0_14default_configENS1_22reduce_config_selectorIfEEZNS1_11reduce_implILb1ES3_N6thrust23THRUST_200600_302600_NS11hip_rocprim26transform_input_iterator_tIfNS8_17counting_iteratorIiNS8_11use_defaultESC_SC_EE11estimate_piEEPffNS8_4plusIfEEEE10hipError_tPvRmT1_T2_T3_mT4_P12ihipStream_tbEUlT_E1_NS1_11comp_targetILNS1_3genE3ELNS1_11target_archE908ELNS1_3gpuE7ELNS1_3repE0EEENS1_30default_config_static_selectorELNS0_4arch9wavefront6targetE0EEEvSM_
; %bb.0:
	.section	.rodata,"a",@progbits
	.p2align	6, 0x0
	.amdhsa_kernel _ZN7rocprim17ROCPRIM_400000_NS6detail17trampoline_kernelINS0_14default_configENS1_22reduce_config_selectorIfEEZNS1_11reduce_implILb1ES3_N6thrust23THRUST_200600_302600_NS11hip_rocprim26transform_input_iterator_tIfNS8_17counting_iteratorIiNS8_11use_defaultESC_SC_EE11estimate_piEEPffNS8_4plusIfEEEE10hipError_tPvRmT1_T2_T3_mT4_P12ihipStream_tbEUlT_E1_NS1_11comp_targetILNS1_3genE3ELNS1_11target_archE908ELNS1_3gpuE7ELNS1_3repE0EEENS1_30default_config_static_selectorELNS0_4arch9wavefront6targetE0EEEvSM_
		.amdhsa_group_segment_fixed_size 0
		.amdhsa_private_segment_fixed_size 0
		.amdhsa_kernarg_size 40
		.amdhsa_user_sgpr_count 6
		.amdhsa_user_sgpr_private_segment_buffer 1
		.amdhsa_user_sgpr_dispatch_ptr 0
		.amdhsa_user_sgpr_queue_ptr 0
		.amdhsa_user_sgpr_kernarg_segment_ptr 1
		.amdhsa_user_sgpr_dispatch_id 0
		.amdhsa_user_sgpr_flat_scratch_init 0
		.amdhsa_user_sgpr_private_segment_size 0
		.amdhsa_wavefront_size32 1
		.amdhsa_uses_dynamic_stack 0
		.amdhsa_system_sgpr_private_segment_wavefront_offset 0
		.amdhsa_system_sgpr_workgroup_id_x 1
		.amdhsa_system_sgpr_workgroup_id_y 0
		.amdhsa_system_sgpr_workgroup_id_z 0
		.amdhsa_system_sgpr_workgroup_info 0
		.amdhsa_system_vgpr_workitem_id 0
		.amdhsa_next_free_vgpr 1
		.amdhsa_next_free_sgpr 1
		.amdhsa_reserve_vcc 0
		.amdhsa_reserve_flat_scratch 0
		.amdhsa_float_round_mode_32 0
		.amdhsa_float_round_mode_16_64 0
		.amdhsa_float_denorm_mode_32 3
		.amdhsa_float_denorm_mode_16_64 3
		.amdhsa_dx10_clamp 1
		.amdhsa_ieee_mode 1
		.amdhsa_fp16_overflow 0
		.amdhsa_workgroup_processor_mode 1
		.amdhsa_memory_ordered 1
		.amdhsa_forward_progress 1
		.amdhsa_shared_vgpr_count 0
		.amdhsa_exception_fp_ieee_invalid_op 0
		.amdhsa_exception_fp_denorm_src 0
		.amdhsa_exception_fp_ieee_div_zero 0
		.amdhsa_exception_fp_ieee_overflow 0
		.amdhsa_exception_fp_ieee_underflow 0
		.amdhsa_exception_fp_ieee_inexact 0
		.amdhsa_exception_int_div_zero 0
	.end_amdhsa_kernel
	.section	.text._ZN7rocprim17ROCPRIM_400000_NS6detail17trampoline_kernelINS0_14default_configENS1_22reduce_config_selectorIfEEZNS1_11reduce_implILb1ES3_N6thrust23THRUST_200600_302600_NS11hip_rocprim26transform_input_iterator_tIfNS8_17counting_iteratorIiNS8_11use_defaultESC_SC_EE11estimate_piEEPffNS8_4plusIfEEEE10hipError_tPvRmT1_T2_T3_mT4_P12ihipStream_tbEUlT_E1_NS1_11comp_targetILNS1_3genE3ELNS1_11target_archE908ELNS1_3gpuE7ELNS1_3repE0EEENS1_30default_config_static_selectorELNS0_4arch9wavefront6targetE0EEEvSM_,"axG",@progbits,_ZN7rocprim17ROCPRIM_400000_NS6detail17trampoline_kernelINS0_14default_configENS1_22reduce_config_selectorIfEEZNS1_11reduce_implILb1ES3_N6thrust23THRUST_200600_302600_NS11hip_rocprim26transform_input_iterator_tIfNS8_17counting_iteratorIiNS8_11use_defaultESC_SC_EE11estimate_piEEPffNS8_4plusIfEEEE10hipError_tPvRmT1_T2_T3_mT4_P12ihipStream_tbEUlT_E1_NS1_11comp_targetILNS1_3genE3ELNS1_11target_archE908ELNS1_3gpuE7ELNS1_3repE0EEENS1_30default_config_static_selectorELNS0_4arch9wavefront6targetE0EEEvSM_,comdat
.Lfunc_end30:
	.size	_ZN7rocprim17ROCPRIM_400000_NS6detail17trampoline_kernelINS0_14default_configENS1_22reduce_config_selectorIfEEZNS1_11reduce_implILb1ES3_N6thrust23THRUST_200600_302600_NS11hip_rocprim26transform_input_iterator_tIfNS8_17counting_iteratorIiNS8_11use_defaultESC_SC_EE11estimate_piEEPffNS8_4plusIfEEEE10hipError_tPvRmT1_T2_T3_mT4_P12ihipStream_tbEUlT_E1_NS1_11comp_targetILNS1_3genE3ELNS1_11target_archE908ELNS1_3gpuE7ELNS1_3repE0EEENS1_30default_config_static_selectorELNS0_4arch9wavefront6targetE0EEEvSM_, .Lfunc_end30-_ZN7rocprim17ROCPRIM_400000_NS6detail17trampoline_kernelINS0_14default_configENS1_22reduce_config_selectorIfEEZNS1_11reduce_implILb1ES3_N6thrust23THRUST_200600_302600_NS11hip_rocprim26transform_input_iterator_tIfNS8_17counting_iteratorIiNS8_11use_defaultESC_SC_EE11estimate_piEEPffNS8_4plusIfEEEE10hipError_tPvRmT1_T2_T3_mT4_P12ihipStream_tbEUlT_E1_NS1_11comp_targetILNS1_3genE3ELNS1_11target_archE908ELNS1_3gpuE7ELNS1_3repE0EEENS1_30default_config_static_selectorELNS0_4arch9wavefront6targetE0EEEvSM_
                                        ; -- End function
	.set _ZN7rocprim17ROCPRIM_400000_NS6detail17trampoline_kernelINS0_14default_configENS1_22reduce_config_selectorIfEEZNS1_11reduce_implILb1ES3_N6thrust23THRUST_200600_302600_NS11hip_rocprim26transform_input_iterator_tIfNS8_17counting_iteratorIiNS8_11use_defaultESC_SC_EE11estimate_piEEPffNS8_4plusIfEEEE10hipError_tPvRmT1_T2_T3_mT4_P12ihipStream_tbEUlT_E1_NS1_11comp_targetILNS1_3genE3ELNS1_11target_archE908ELNS1_3gpuE7ELNS1_3repE0EEENS1_30default_config_static_selectorELNS0_4arch9wavefront6targetE0EEEvSM_.num_vgpr, 0
	.set _ZN7rocprim17ROCPRIM_400000_NS6detail17trampoline_kernelINS0_14default_configENS1_22reduce_config_selectorIfEEZNS1_11reduce_implILb1ES3_N6thrust23THRUST_200600_302600_NS11hip_rocprim26transform_input_iterator_tIfNS8_17counting_iteratorIiNS8_11use_defaultESC_SC_EE11estimate_piEEPffNS8_4plusIfEEEE10hipError_tPvRmT1_T2_T3_mT4_P12ihipStream_tbEUlT_E1_NS1_11comp_targetILNS1_3genE3ELNS1_11target_archE908ELNS1_3gpuE7ELNS1_3repE0EEENS1_30default_config_static_selectorELNS0_4arch9wavefront6targetE0EEEvSM_.num_agpr, 0
	.set _ZN7rocprim17ROCPRIM_400000_NS6detail17trampoline_kernelINS0_14default_configENS1_22reduce_config_selectorIfEEZNS1_11reduce_implILb1ES3_N6thrust23THRUST_200600_302600_NS11hip_rocprim26transform_input_iterator_tIfNS8_17counting_iteratorIiNS8_11use_defaultESC_SC_EE11estimate_piEEPffNS8_4plusIfEEEE10hipError_tPvRmT1_T2_T3_mT4_P12ihipStream_tbEUlT_E1_NS1_11comp_targetILNS1_3genE3ELNS1_11target_archE908ELNS1_3gpuE7ELNS1_3repE0EEENS1_30default_config_static_selectorELNS0_4arch9wavefront6targetE0EEEvSM_.numbered_sgpr, 0
	.set _ZN7rocprim17ROCPRIM_400000_NS6detail17trampoline_kernelINS0_14default_configENS1_22reduce_config_selectorIfEEZNS1_11reduce_implILb1ES3_N6thrust23THRUST_200600_302600_NS11hip_rocprim26transform_input_iterator_tIfNS8_17counting_iteratorIiNS8_11use_defaultESC_SC_EE11estimate_piEEPffNS8_4plusIfEEEE10hipError_tPvRmT1_T2_T3_mT4_P12ihipStream_tbEUlT_E1_NS1_11comp_targetILNS1_3genE3ELNS1_11target_archE908ELNS1_3gpuE7ELNS1_3repE0EEENS1_30default_config_static_selectorELNS0_4arch9wavefront6targetE0EEEvSM_.num_named_barrier, 0
	.set _ZN7rocprim17ROCPRIM_400000_NS6detail17trampoline_kernelINS0_14default_configENS1_22reduce_config_selectorIfEEZNS1_11reduce_implILb1ES3_N6thrust23THRUST_200600_302600_NS11hip_rocprim26transform_input_iterator_tIfNS8_17counting_iteratorIiNS8_11use_defaultESC_SC_EE11estimate_piEEPffNS8_4plusIfEEEE10hipError_tPvRmT1_T2_T3_mT4_P12ihipStream_tbEUlT_E1_NS1_11comp_targetILNS1_3genE3ELNS1_11target_archE908ELNS1_3gpuE7ELNS1_3repE0EEENS1_30default_config_static_selectorELNS0_4arch9wavefront6targetE0EEEvSM_.private_seg_size, 0
	.set _ZN7rocprim17ROCPRIM_400000_NS6detail17trampoline_kernelINS0_14default_configENS1_22reduce_config_selectorIfEEZNS1_11reduce_implILb1ES3_N6thrust23THRUST_200600_302600_NS11hip_rocprim26transform_input_iterator_tIfNS8_17counting_iteratorIiNS8_11use_defaultESC_SC_EE11estimate_piEEPffNS8_4plusIfEEEE10hipError_tPvRmT1_T2_T3_mT4_P12ihipStream_tbEUlT_E1_NS1_11comp_targetILNS1_3genE3ELNS1_11target_archE908ELNS1_3gpuE7ELNS1_3repE0EEENS1_30default_config_static_selectorELNS0_4arch9wavefront6targetE0EEEvSM_.uses_vcc, 0
	.set _ZN7rocprim17ROCPRIM_400000_NS6detail17trampoline_kernelINS0_14default_configENS1_22reduce_config_selectorIfEEZNS1_11reduce_implILb1ES3_N6thrust23THRUST_200600_302600_NS11hip_rocprim26transform_input_iterator_tIfNS8_17counting_iteratorIiNS8_11use_defaultESC_SC_EE11estimate_piEEPffNS8_4plusIfEEEE10hipError_tPvRmT1_T2_T3_mT4_P12ihipStream_tbEUlT_E1_NS1_11comp_targetILNS1_3genE3ELNS1_11target_archE908ELNS1_3gpuE7ELNS1_3repE0EEENS1_30default_config_static_selectorELNS0_4arch9wavefront6targetE0EEEvSM_.uses_flat_scratch, 0
	.set _ZN7rocprim17ROCPRIM_400000_NS6detail17trampoline_kernelINS0_14default_configENS1_22reduce_config_selectorIfEEZNS1_11reduce_implILb1ES3_N6thrust23THRUST_200600_302600_NS11hip_rocprim26transform_input_iterator_tIfNS8_17counting_iteratorIiNS8_11use_defaultESC_SC_EE11estimate_piEEPffNS8_4plusIfEEEE10hipError_tPvRmT1_T2_T3_mT4_P12ihipStream_tbEUlT_E1_NS1_11comp_targetILNS1_3genE3ELNS1_11target_archE908ELNS1_3gpuE7ELNS1_3repE0EEENS1_30default_config_static_selectorELNS0_4arch9wavefront6targetE0EEEvSM_.has_dyn_sized_stack, 0
	.set _ZN7rocprim17ROCPRIM_400000_NS6detail17trampoline_kernelINS0_14default_configENS1_22reduce_config_selectorIfEEZNS1_11reduce_implILb1ES3_N6thrust23THRUST_200600_302600_NS11hip_rocprim26transform_input_iterator_tIfNS8_17counting_iteratorIiNS8_11use_defaultESC_SC_EE11estimate_piEEPffNS8_4plusIfEEEE10hipError_tPvRmT1_T2_T3_mT4_P12ihipStream_tbEUlT_E1_NS1_11comp_targetILNS1_3genE3ELNS1_11target_archE908ELNS1_3gpuE7ELNS1_3repE0EEENS1_30default_config_static_selectorELNS0_4arch9wavefront6targetE0EEEvSM_.has_recursion, 0
	.set _ZN7rocprim17ROCPRIM_400000_NS6detail17trampoline_kernelINS0_14default_configENS1_22reduce_config_selectorIfEEZNS1_11reduce_implILb1ES3_N6thrust23THRUST_200600_302600_NS11hip_rocprim26transform_input_iterator_tIfNS8_17counting_iteratorIiNS8_11use_defaultESC_SC_EE11estimate_piEEPffNS8_4plusIfEEEE10hipError_tPvRmT1_T2_T3_mT4_P12ihipStream_tbEUlT_E1_NS1_11comp_targetILNS1_3genE3ELNS1_11target_archE908ELNS1_3gpuE7ELNS1_3repE0EEENS1_30default_config_static_selectorELNS0_4arch9wavefront6targetE0EEEvSM_.has_indirect_call, 0
	.section	.AMDGPU.csdata,"",@progbits
; Kernel info:
; codeLenInByte = 0
; TotalNumSgprs: 0
; NumVgprs: 0
; ScratchSize: 0
; MemoryBound: 0
; FloatMode: 240
; IeeeMode: 1
; LDSByteSize: 0 bytes/workgroup (compile time only)
; SGPRBlocks: 0
; VGPRBlocks: 0
; NumSGPRsForWavesPerEU: 1
; NumVGPRsForWavesPerEU: 1
; Occupancy: 16
; WaveLimiterHint : 0
; COMPUTE_PGM_RSRC2:SCRATCH_EN: 0
; COMPUTE_PGM_RSRC2:USER_SGPR: 6
; COMPUTE_PGM_RSRC2:TRAP_HANDLER: 0
; COMPUTE_PGM_RSRC2:TGID_X_EN: 1
; COMPUTE_PGM_RSRC2:TGID_Y_EN: 0
; COMPUTE_PGM_RSRC2:TGID_Z_EN: 0
; COMPUTE_PGM_RSRC2:TIDIG_COMP_CNT: 0
	.section	.text._ZN7rocprim17ROCPRIM_400000_NS6detail17trampoline_kernelINS0_14default_configENS1_22reduce_config_selectorIfEEZNS1_11reduce_implILb1ES3_N6thrust23THRUST_200600_302600_NS11hip_rocprim26transform_input_iterator_tIfNS8_17counting_iteratorIiNS8_11use_defaultESC_SC_EE11estimate_piEEPffNS8_4plusIfEEEE10hipError_tPvRmT1_T2_T3_mT4_P12ihipStream_tbEUlT_E1_NS1_11comp_targetILNS1_3genE2ELNS1_11target_archE906ELNS1_3gpuE6ELNS1_3repE0EEENS1_30default_config_static_selectorELNS0_4arch9wavefront6targetE0EEEvSM_,"axG",@progbits,_ZN7rocprim17ROCPRIM_400000_NS6detail17trampoline_kernelINS0_14default_configENS1_22reduce_config_selectorIfEEZNS1_11reduce_implILb1ES3_N6thrust23THRUST_200600_302600_NS11hip_rocprim26transform_input_iterator_tIfNS8_17counting_iteratorIiNS8_11use_defaultESC_SC_EE11estimate_piEEPffNS8_4plusIfEEEE10hipError_tPvRmT1_T2_T3_mT4_P12ihipStream_tbEUlT_E1_NS1_11comp_targetILNS1_3genE2ELNS1_11target_archE906ELNS1_3gpuE6ELNS1_3repE0EEENS1_30default_config_static_selectorELNS0_4arch9wavefront6targetE0EEEvSM_,comdat
	.protected	_ZN7rocprim17ROCPRIM_400000_NS6detail17trampoline_kernelINS0_14default_configENS1_22reduce_config_selectorIfEEZNS1_11reduce_implILb1ES3_N6thrust23THRUST_200600_302600_NS11hip_rocprim26transform_input_iterator_tIfNS8_17counting_iteratorIiNS8_11use_defaultESC_SC_EE11estimate_piEEPffNS8_4plusIfEEEE10hipError_tPvRmT1_T2_T3_mT4_P12ihipStream_tbEUlT_E1_NS1_11comp_targetILNS1_3genE2ELNS1_11target_archE906ELNS1_3gpuE6ELNS1_3repE0EEENS1_30default_config_static_selectorELNS0_4arch9wavefront6targetE0EEEvSM_ ; -- Begin function _ZN7rocprim17ROCPRIM_400000_NS6detail17trampoline_kernelINS0_14default_configENS1_22reduce_config_selectorIfEEZNS1_11reduce_implILb1ES3_N6thrust23THRUST_200600_302600_NS11hip_rocprim26transform_input_iterator_tIfNS8_17counting_iteratorIiNS8_11use_defaultESC_SC_EE11estimate_piEEPffNS8_4plusIfEEEE10hipError_tPvRmT1_T2_T3_mT4_P12ihipStream_tbEUlT_E1_NS1_11comp_targetILNS1_3genE2ELNS1_11target_archE906ELNS1_3gpuE6ELNS1_3repE0EEENS1_30default_config_static_selectorELNS0_4arch9wavefront6targetE0EEEvSM_
	.globl	_ZN7rocprim17ROCPRIM_400000_NS6detail17trampoline_kernelINS0_14default_configENS1_22reduce_config_selectorIfEEZNS1_11reduce_implILb1ES3_N6thrust23THRUST_200600_302600_NS11hip_rocprim26transform_input_iterator_tIfNS8_17counting_iteratorIiNS8_11use_defaultESC_SC_EE11estimate_piEEPffNS8_4plusIfEEEE10hipError_tPvRmT1_T2_T3_mT4_P12ihipStream_tbEUlT_E1_NS1_11comp_targetILNS1_3genE2ELNS1_11target_archE906ELNS1_3gpuE6ELNS1_3repE0EEENS1_30default_config_static_selectorELNS0_4arch9wavefront6targetE0EEEvSM_
	.p2align	8
	.type	_ZN7rocprim17ROCPRIM_400000_NS6detail17trampoline_kernelINS0_14default_configENS1_22reduce_config_selectorIfEEZNS1_11reduce_implILb1ES3_N6thrust23THRUST_200600_302600_NS11hip_rocprim26transform_input_iterator_tIfNS8_17counting_iteratorIiNS8_11use_defaultESC_SC_EE11estimate_piEEPffNS8_4plusIfEEEE10hipError_tPvRmT1_T2_T3_mT4_P12ihipStream_tbEUlT_E1_NS1_11comp_targetILNS1_3genE2ELNS1_11target_archE906ELNS1_3gpuE6ELNS1_3repE0EEENS1_30default_config_static_selectorELNS0_4arch9wavefront6targetE0EEEvSM_,@function
_ZN7rocprim17ROCPRIM_400000_NS6detail17trampoline_kernelINS0_14default_configENS1_22reduce_config_selectorIfEEZNS1_11reduce_implILb1ES3_N6thrust23THRUST_200600_302600_NS11hip_rocprim26transform_input_iterator_tIfNS8_17counting_iteratorIiNS8_11use_defaultESC_SC_EE11estimate_piEEPffNS8_4plusIfEEEE10hipError_tPvRmT1_T2_T3_mT4_P12ihipStream_tbEUlT_E1_NS1_11comp_targetILNS1_3genE2ELNS1_11target_archE906ELNS1_3gpuE6ELNS1_3repE0EEENS1_30default_config_static_selectorELNS0_4arch9wavefront6targetE0EEEvSM_: ; @_ZN7rocprim17ROCPRIM_400000_NS6detail17trampoline_kernelINS0_14default_configENS1_22reduce_config_selectorIfEEZNS1_11reduce_implILb1ES3_N6thrust23THRUST_200600_302600_NS11hip_rocprim26transform_input_iterator_tIfNS8_17counting_iteratorIiNS8_11use_defaultESC_SC_EE11estimate_piEEPffNS8_4plusIfEEEE10hipError_tPvRmT1_T2_T3_mT4_P12ihipStream_tbEUlT_E1_NS1_11comp_targetILNS1_3genE2ELNS1_11target_archE906ELNS1_3gpuE6ELNS1_3repE0EEENS1_30default_config_static_selectorELNS0_4arch9wavefront6targetE0EEEvSM_
; %bb.0:
	.section	.rodata,"a",@progbits
	.p2align	6, 0x0
	.amdhsa_kernel _ZN7rocprim17ROCPRIM_400000_NS6detail17trampoline_kernelINS0_14default_configENS1_22reduce_config_selectorIfEEZNS1_11reduce_implILb1ES3_N6thrust23THRUST_200600_302600_NS11hip_rocprim26transform_input_iterator_tIfNS8_17counting_iteratorIiNS8_11use_defaultESC_SC_EE11estimate_piEEPffNS8_4plusIfEEEE10hipError_tPvRmT1_T2_T3_mT4_P12ihipStream_tbEUlT_E1_NS1_11comp_targetILNS1_3genE2ELNS1_11target_archE906ELNS1_3gpuE6ELNS1_3repE0EEENS1_30default_config_static_selectorELNS0_4arch9wavefront6targetE0EEEvSM_
		.amdhsa_group_segment_fixed_size 0
		.amdhsa_private_segment_fixed_size 0
		.amdhsa_kernarg_size 40
		.amdhsa_user_sgpr_count 6
		.amdhsa_user_sgpr_private_segment_buffer 1
		.amdhsa_user_sgpr_dispatch_ptr 0
		.amdhsa_user_sgpr_queue_ptr 0
		.amdhsa_user_sgpr_kernarg_segment_ptr 1
		.amdhsa_user_sgpr_dispatch_id 0
		.amdhsa_user_sgpr_flat_scratch_init 0
		.amdhsa_user_sgpr_private_segment_size 0
		.amdhsa_wavefront_size32 1
		.amdhsa_uses_dynamic_stack 0
		.amdhsa_system_sgpr_private_segment_wavefront_offset 0
		.amdhsa_system_sgpr_workgroup_id_x 1
		.amdhsa_system_sgpr_workgroup_id_y 0
		.amdhsa_system_sgpr_workgroup_id_z 0
		.amdhsa_system_sgpr_workgroup_info 0
		.amdhsa_system_vgpr_workitem_id 0
		.amdhsa_next_free_vgpr 1
		.amdhsa_next_free_sgpr 1
		.amdhsa_reserve_vcc 0
		.amdhsa_reserve_flat_scratch 0
		.amdhsa_float_round_mode_32 0
		.amdhsa_float_round_mode_16_64 0
		.amdhsa_float_denorm_mode_32 3
		.amdhsa_float_denorm_mode_16_64 3
		.amdhsa_dx10_clamp 1
		.amdhsa_ieee_mode 1
		.amdhsa_fp16_overflow 0
		.amdhsa_workgroup_processor_mode 1
		.amdhsa_memory_ordered 1
		.amdhsa_forward_progress 1
		.amdhsa_shared_vgpr_count 0
		.amdhsa_exception_fp_ieee_invalid_op 0
		.amdhsa_exception_fp_denorm_src 0
		.amdhsa_exception_fp_ieee_div_zero 0
		.amdhsa_exception_fp_ieee_overflow 0
		.amdhsa_exception_fp_ieee_underflow 0
		.amdhsa_exception_fp_ieee_inexact 0
		.amdhsa_exception_int_div_zero 0
	.end_amdhsa_kernel
	.section	.text._ZN7rocprim17ROCPRIM_400000_NS6detail17trampoline_kernelINS0_14default_configENS1_22reduce_config_selectorIfEEZNS1_11reduce_implILb1ES3_N6thrust23THRUST_200600_302600_NS11hip_rocprim26transform_input_iterator_tIfNS8_17counting_iteratorIiNS8_11use_defaultESC_SC_EE11estimate_piEEPffNS8_4plusIfEEEE10hipError_tPvRmT1_T2_T3_mT4_P12ihipStream_tbEUlT_E1_NS1_11comp_targetILNS1_3genE2ELNS1_11target_archE906ELNS1_3gpuE6ELNS1_3repE0EEENS1_30default_config_static_selectorELNS0_4arch9wavefront6targetE0EEEvSM_,"axG",@progbits,_ZN7rocprim17ROCPRIM_400000_NS6detail17trampoline_kernelINS0_14default_configENS1_22reduce_config_selectorIfEEZNS1_11reduce_implILb1ES3_N6thrust23THRUST_200600_302600_NS11hip_rocprim26transform_input_iterator_tIfNS8_17counting_iteratorIiNS8_11use_defaultESC_SC_EE11estimate_piEEPffNS8_4plusIfEEEE10hipError_tPvRmT1_T2_T3_mT4_P12ihipStream_tbEUlT_E1_NS1_11comp_targetILNS1_3genE2ELNS1_11target_archE906ELNS1_3gpuE6ELNS1_3repE0EEENS1_30default_config_static_selectorELNS0_4arch9wavefront6targetE0EEEvSM_,comdat
.Lfunc_end31:
	.size	_ZN7rocprim17ROCPRIM_400000_NS6detail17trampoline_kernelINS0_14default_configENS1_22reduce_config_selectorIfEEZNS1_11reduce_implILb1ES3_N6thrust23THRUST_200600_302600_NS11hip_rocprim26transform_input_iterator_tIfNS8_17counting_iteratorIiNS8_11use_defaultESC_SC_EE11estimate_piEEPffNS8_4plusIfEEEE10hipError_tPvRmT1_T2_T3_mT4_P12ihipStream_tbEUlT_E1_NS1_11comp_targetILNS1_3genE2ELNS1_11target_archE906ELNS1_3gpuE6ELNS1_3repE0EEENS1_30default_config_static_selectorELNS0_4arch9wavefront6targetE0EEEvSM_, .Lfunc_end31-_ZN7rocprim17ROCPRIM_400000_NS6detail17trampoline_kernelINS0_14default_configENS1_22reduce_config_selectorIfEEZNS1_11reduce_implILb1ES3_N6thrust23THRUST_200600_302600_NS11hip_rocprim26transform_input_iterator_tIfNS8_17counting_iteratorIiNS8_11use_defaultESC_SC_EE11estimate_piEEPffNS8_4plusIfEEEE10hipError_tPvRmT1_T2_T3_mT4_P12ihipStream_tbEUlT_E1_NS1_11comp_targetILNS1_3genE2ELNS1_11target_archE906ELNS1_3gpuE6ELNS1_3repE0EEENS1_30default_config_static_selectorELNS0_4arch9wavefront6targetE0EEEvSM_
                                        ; -- End function
	.set _ZN7rocprim17ROCPRIM_400000_NS6detail17trampoline_kernelINS0_14default_configENS1_22reduce_config_selectorIfEEZNS1_11reduce_implILb1ES3_N6thrust23THRUST_200600_302600_NS11hip_rocprim26transform_input_iterator_tIfNS8_17counting_iteratorIiNS8_11use_defaultESC_SC_EE11estimate_piEEPffNS8_4plusIfEEEE10hipError_tPvRmT1_T2_T3_mT4_P12ihipStream_tbEUlT_E1_NS1_11comp_targetILNS1_3genE2ELNS1_11target_archE906ELNS1_3gpuE6ELNS1_3repE0EEENS1_30default_config_static_selectorELNS0_4arch9wavefront6targetE0EEEvSM_.num_vgpr, 0
	.set _ZN7rocprim17ROCPRIM_400000_NS6detail17trampoline_kernelINS0_14default_configENS1_22reduce_config_selectorIfEEZNS1_11reduce_implILb1ES3_N6thrust23THRUST_200600_302600_NS11hip_rocprim26transform_input_iterator_tIfNS8_17counting_iteratorIiNS8_11use_defaultESC_SC_EE11estimate_piEEPffNS8_4plusIfEEEE10hipError_tPvRmT1_T2_T3_mT4_P12ihipStream_tbEUlT_E1_NS1_11comp_targetILNS1_3genE2ELNS1_11target_archE906ELNS1_3gpuE6ELNS1_3repE0EEENS1_30default_config_static_selectorELNS0_4arch9wavefront6targetE0EEEvSM_.num_agpr, 0
	.set _ZN7rocprim17ROCPRIM_400000_NS6detail17trampoline_kernelINS0_14default_configENS1_22reduce_config_selectorIfEEZNS1_11reduce_implILb1ES3_N6thrust23THRUST_200600_302600_NS11hip_rocprim26transform_input_iterator_tIfNS8_17counting_iteratorIiNS8_11use_defaultESC_SC_EE11estimate_piEEPffNS8_4plusIfEEEE10hipError_tPvRmT1_T2_T3_mT4_P12ihipStream_tbEUlT_E1_NS1_11comp_targetILNS1_3genE2ELNS1_11target_archE906ELNS1_3gpuE6ELNS1_3repE0EEENS1_30default_config_static_selectorELNS0_4arch9wavefront6targetE0EEEvSM_.numbered_sgpr, 0
	.set _ZN7rocprim17ROCPRIM_400000_NS6detail17trampoline_kernelINS0_14default_configENS1_22reduce_config_selectorIfEEZNS1_11reduce_implILb1ES3_N6thrust23THRUST_200600_302600_NS11hip_rocprim26transform_input_iterator_tIfNS8_17counting_iteratorIiNS8_11use_defaultESC_SC_EE11estimate_piEEPffNS8_4plusIfEEEE10hipError_tPvRmT1_T2_T3_mT4_P12ihipStream_tbEUlT_E1_NS1_11comp_targetILNS1_3genE2ELNS1_11target_archE906ELNS1_3gpuE6ELNS1_3repE0EEENS1_30default_config_static_selectorELNS0_4arch9wavefront6targetE0EEEvSM_.num_named_barrier, 0
	.set _ZN7rocprim17ROCPRIM_400000_NS6detail17trampoline_kernelINS0_14default_configENS1_22reduce_config_selectorIfEEZNS1_11reduce_implILb1ES3_N6thrust23THRUST_200600_302600_NS11hip_rocprim26transform_input_iterator_tIfNS8_17counting_iteratorIiNS8_11use_defaultESC_SC_EE11estimate_piEEPffNS8_4plusIfEEEE10hipError_tPvRmT1_T2_T3_mT4_P12ihipStream_tbEUlT_E1_NS1_11comp_targetILNS1_3genE2ELNS1_11target_archE906ELNS1_3gpuE6ELNS1_3repE0EEENS1_30default_config_static_selectorELNS0_4arch9wavefront6targetE0EEEvSM_.private_seg_size, 0
	.set _ZN7rocprim17ROCPRIM_400000_NS6detail17trampoline_kernelINS0_14default_configENS1_22reduce_config_selectorIfEEZNS1_11reduce_implILb1ES3_N6thrust23THRUST_200600_302600_NS11hip_rocprim26transform_input_iterator_tIfNS8_17counting_iteratorIiNS8_11use_defaultESC_SC_EE11estimate_piEEPffNS8_4plusIfEEEE10hipError_tPvRmT1_T2_T3_mT4_P12ihipStream_tbEUlT_E1_NS1_11comp_targetILNS1_3genE2ELNS1_11target_archE906ELNS1_3gpuE6ELNS1_3repE0EEENS1_30default_config_static_selectorELNS0_4arch9wavefront6targetE0EEEvSM_.uses_vcc, 0
	.set _ZN7rocprim17ROCPRIM_400000_NS6detail17trampoline_kernelINS0_14default_configENS1_22reduce_config_selectorIfEEZNS1_11reduce_implILb1ES3_N6thrust23THRUST_200600_302600_NS11hip_rocprim26transform_input_iterator_tIfNS8_17counting_iteratorIiNS8_11use_defaultESC_SC_EE11estimate_piEEPffNS8_4plusIfEEEE10hipError_tPvRmT1_T2_T3_mT4_P12ihipStream_tbEUlT_E1_NS1_11comp_targetILNS1_3genE2ELNS1_11target_archE906ELNS1_3gpuE6ELNS1_3repE0EEENS1_30default_config_static_selectorELNS0_4arch9wavefront6targetE0EEEvSM_.uses_flat_scratch, 0
	.set _ZN7rocprim17ROCPRIM_400000_NS6detail17trampoline_kernelINS0_14default_configENS1_22reduce_config_selectorIfEEZNS1_11reduce_implILb1ES3_N6thrust23THRUST_200600_302600_NS11hip_rocprim26transform_input_iterator_tIfNS8_17counting_iteratorIiNS8_11use_defaultESC_SC_EE11estimate_piEEPffNS8_4plusIfEEEE10hipError_tPvRmT1_T2_T3_mT4_P12ihipStream_tbEUlT_E1_NS1_11comp_targetILNS1_3genE2ELNS1_11target_archE906ELNS1_3gpuE6ELNS1_3repE0EEENS1_30default_config_static_selectorELNS0_4arch9wavefront6targetE0EEEvSM_.has_dyn_sized_stack, 0
	.set _ZN7rocprim17ROCPRIM_400000_NS6detail17trampoline_kernelINS0_14default_configENS1_22reduce_config_selectorIfEEZNS1_11reduce_implILb1ES3_N6thrust23THRUST_200600_302600_NS11hip_rocprim26transform_input_iterator_tIfNS8_17counting_iteratorIiNS8_11use_defaultESC_SC_EE11estimate_piEEPffNS8_4plusIfEEEE10hipError_tPvRmT1_T2_T3_mT4_P12ihipStream_tbEUlT_E1_NS1_11comp_targetILNS1_3genE2ELNS1_11target_archE906ELNS1_3gpuE6ELNS1_3repE0EEENS1_30default_config_static_selectorELNS0_4arch9wavefront6targetE0EEEvSM_.has_recursion, 0
	.set _ZN7rocprim17ROCPRIM_400000_NS6detail17trampoline_kernelINS0_14default_configENS1_22reduce_config_selectorIfEEZNS1_11reduce_implILb1ES3_N6thrust23THRUST_200600_302600_NS11hip_rocprim26transform_input_iterator_tIfNS8_17counting_iteratorIiNS8_11use_defaultESC_SC_EE11estimate_piEEPffNS8_4plusIfEEEE10hipError_tPvRmT1_T2_T3_mT4_P12ihipStream_tbEUlT_E1_NS1_11comp_targetILNS1_3genE2ELNS1_11target_archE906ELNS1_3gpuE6ELNS1_3repE0EEENS1_30default_config_static_selectorELNS0_4arch9wavefront6targetE0EEEvSM_.has_indirect_call, 0
	.section	.AMDGPU.csdata,"",@progbits
; Kernel info:
; codeLenInByte = 0
; TotalNumSgprs: 0
; NumVgprs: 0
; ScratchSize: 0
; MemoryBound: 0
; FloatMode: 240
; IeeeMode: 1
; LDSByteSize: 0 bytes/workgroup (compile time only)
; SGPRBlocks: 0
; VGPRBlocks: 0
; NumSGPRsForWavesPerEU: 1
; NumVGPRsForWavesPerEU: 1
; Occupancy: 16
; WaveLimiterHint : 0
; COMPUTE_PGM_RSRC2:SCRATCH_EN: 0
; COMPUTE_PGM_RSRC2:USER_SGPR: 6
; COMPUTE_PGM_RSRC2:TRAP_HANDLER: 0
; COMPUTE_PGM_RSRC2:TGID_X_EN: 1
; COMPUTE_PGM_RSRC2:TGID_Y_EN: 0
; COMPUTE_PGM_RSRC2:TGID_Z_EN: 0
; COMPUTE_PGM_RSRC2:TIDIG_COMP_CNT: 0
	.section	.text._ZN7rocprim17ROCPRIM_400000_NS6detail17trampoline_kernelINS0_14default_configENS1_22reduce_config_selectorIfEEZNS1_11reduce_implILb1ES3_N6thrust23THRUST_200600_302600_NS11hip_rocprim26transform_input_iterator_tIfNS8_17counting_iteratorIiNS8_11use_defaultESC_SC_EE11estimate_piEEPffNS8_4plusIfEEEE10hipError_tPvRmT1_T2_T3_mT4_P12ihipStream_tbEUlT_E1_NS1_11comp_targetILNS1_3genE10ELNS1_11target_archE1201ELNS1_3gpuE5ELNS1_3repE0EEENS1_30default_config_static_selectorELNS0_4arch9wavefront6targetE0EEEvSM_,"axG",@progbits,_ZN7rocprim17ROCPRIM_400000_NS6detail17trampoline_kernelINS0_14default_configENS1_22reduce_config_selectorIfEEZNS1_11reduce_implILb1ES3_N6thrust23THRUST_200600_302600_NS11hip_rocprim26transform_input_iterator_tIfNS8_17counting_iteratorIiNS8_11use_defaultESC_SC_EE11estimate_piEEPffNS8_4plusIfEEEE10hipError_tPvRmT1_T2_T3_mT4_P12ihipStream_tbEUlT_E1_NS1_11comp_targetILNS1_3genE10ELNS1_11target_archE1201ELNS1_3gpuE5ELNS1_3repE0EEENS1_30default_config_static_selectorELNS0_4arch9wavefront6targetE0EEEvSM_,comdat
	.protected	_ZN7rocprim17ROCPRIM_400000_NS6detail17trampoline_kernelINS0_14default_configENS1_22reduce_config_selectorIfEEZNS1_11reduce_implILb1ES3_N6thrust23THRUST_200600_302600_NS11hip_rocprim26transform_input_iterator_tIfNS8_17counting_iteratorIiNS8_11use_defaultESC_SC_EE11estimate_piEEPffNS8_4plusIfEEEE10hipError_tPvRmT1_T2_T3_mT4_P12ihipStream_tbEUlT_E1_NS1_11comp_targetILNS1_3genE10ELNS1_11target_archE1201ELNS1_3gpuE5ELNS1_3repE0EEENS1_30default_config_static_selectorELNS0_4arch9wavefront6targetE0EEEvSM_ ; -- Begin function _ZN7rocprim17ROCPRIM_400000_NS6detail17trampoline_kernelINS0_14default_configENS1_22reduce_config_selectorIfEEZNS1_11reduce_implILb1ES3_N6thrust23THRUST_200600_302600_NS11hip_rocprim26transform_input_iterator_tIfNS8_17counting_iteratorIiNS8_11use_defaultESC_SC_EE11estimate_piEEPffNS8_4plusIfEEEE10hipError_tPvRmT1_T2_T3_mT4_P12ihipStream_tbEUlT_E1_NS1_11comp_targetILNS1_3genE10ELNS1_11target_archE1201ELNS1_3gpuE5ELNS1_3repE0EEENS1_30default_config_static_selectorELNS0_4arch9wavefront6targetE0EEEvSM_
	.globl	_ZN7rocprim17ROCPRIM_400000_NS6detail17trampoline_kernelINS0_14default_configENS1_22reduce_config_selectorIfEEZNS1_11reduce_implILb1ES3_N6thrust23THRUST_200600_302600_NS11hip_rocprim26transform_input_iterator_tIfNS8_17counting_iteratorIiNS8_11use_defaultESC_SC_EE11estimate_piEEPffNS8_4plusIfEEEE10hipError_tPvRmT1_T2_T3_mT4_P12ihipStream_tbEUlT_E1_NS1_11comp_targetILNS1_3genE10ELNS1_11target_archE1201ELNS1_3gpuE5ELNS1_3repE0EEENS1_30default_config_static_selectorELNS0_4arch9wavefront6targetE0EEEvSM_
	.p2align	8
	.type	_ZN7rocprim17ROCPRIM_400000_NS6detail17trampoline_kernelINS0_14default_configENS1_22reduce_config_selectorIfEEZNS1_11reduce_implILb1ES3_N6thrust23THRUST_200600_302600_NS11hip_rocprim26transform_input_iterator_tIfNS8_17counting_iteratorIiNS8_11use_defaultESC_SC_EE11estimate_piEEPffNS8_4plusIfEEEE10hipError_tPvRmT1_T2_T3_mT4_P12ihipStream_tbEUlT_E1_NS1_11comp_targetILNS1_3genE10ELNS1_11target_archE1201ELNS1_3gpuE5ELNS1_3repE0EEENS1_30default_config_static_selectorELNS0_4arch9wavefront6targetE0EEEvSM_,@function
_ZN7rocprim17ROCPRIM_400000_NS6detail17trampoline_kernelINS0_14default_configENS1_22reduce_config_selectorIfEEZNS1_11reduce_implILb1ES3_N6thrust23THRUST_200600_302600_NS11hip_rocprim26transform_input_iterator_tIfNS8_17counting_iteratorIiNS8_11use_defaultESC_SC_EE11estimate_piEEPffNS8_4plusIfEEEE10hipError_tPvRmT1_T2_T3_mT4_P12ihipStream_tbEUlT_E1_NS1_11comp_targetILNS1_3genE10ELNS1_11target_archE1201ELNS1_3gpuE5ELNS1_3repE0EEENS1_30default_config_static_selectorELNS0_4arch9wavefront6targetE0EEEvSM_: ; @_ZN7rocprim17ROCPRIM_400000_NS6detail17trampoline_kernelINS0_14default_configENS1_22reduce_config_selectorIfEEZNS1_11reduce_implILb1ES3_N6thrust23THRUST_200600_302600_NS11hip_rocprim26transform_input_iterator_tIfNS8_17counting_iteratorIiNS8_11use_defaultESC_SC_EE11estimate_piEEPffNS8_4plusIfEEEE10hipError_tPvRmT1_T2_T3_mT4_P12ihipStream_tbEUlT_E1_NS1_11comp_targetILNS1_3genE10ELNS1_11target_archE1201ELNS1_3gpuE5ELNS1_3repE0EEENS1_30default_config_static_selectorELNS0_4arch9wavefront6targetE0EEEvSM_
; %bb.0:
	.section	.rodata,"a",@progbits
	.p2align	6, 0x0
	.amdhsa_kernel _ZN7rocprim17ROCPRIM_400000_NS6detail17trampoline_kernelINS0_14default_configENS1_22reduce_config_selectorIfEEZNS1_11reduce_implILb1ES3_N6thrust23THRUST_200600_302600_NS11hip_rocprim26transform_input_iterator_tIfNS8_17counting_iteratorIiNS8_11use_defaultESC_SC_EE11estimate_piEEPffNS8_4plusIfEEEE10hipError_tPvRmT1_T2_T3_mT4_P12ihipStream_tbEUlT_E1_NS1_11comp_targetILNS1_3genE10ELNS1_11target_archE1201ELNS1_3gpuE5ELNS1_3repE0EEENS1_30default_config_static_selectorELNS0_4arch9wavefront6targetE0EEEvSM_
		.amdhsa_group_segment_fixed_size 0
		.amdhsa_private_segment_fixed_size 0
		.amdhsa_kernarg_size 40
		.amdhsa_user_sgpr_count 6
		.amdhsa_user_sgpr_private_segment_buffer 1
		.amdhsa_user_sgpr_dispatch_ptr 0
		.amdhsa_user_sgpr_queue_ptr 0
		.amdhsa_user_sgpr_kernarg_segment_ptr 1
		.amdhsa_user_sgpr_dispatch_id 0
		.amdhsa_user_sgpr_flat_scratch_init 0
		.amdhsa_user_sgpr_private_segment_size 0
		.amdhsa_wavefront_size32 1
		.amdhsa_uses_dynamic_stack 0
		.amdhsa_system_sgpr_private_segment_wavefront_offset 0
		.amdhsa_system_sgpr_workgroup_id_x 1
		.amdhsa_system_sgpr_workgroup_id_y 0
		.amdhsa_system_sgpr_workgroup_id_z 0
		.amdhsa_system_sgpr_workgroup_info 0
		.amdhsa_system_vgpr_workitem_id 0
		.amdhsa_next_free_vgpr 1
		.amdhsa_next_free_sgpr 1
		.amdhsa_reserve_vcc 0
		.amdhsa_reserve_flat_scratch 0
		.amdhsa_float_round_mode_32 0
		.amdhsa_float_round_mode_16_64 0
		.amdhsa_float_denorm_mode_32 3
		.amdhsa_float_denorm_mode_16_64 3
		.amdhsa_dx10_clamp 1
		.amdhsa_ieee_mode 1
		.amdhsa_fp16_overflow 0
		.amdhsa_workgroup_processor_mode 1
		.amdhsa_memory_ordered 1
		.amdhsa_forward_progress 1
		.amdhsa_shared_vgpr_count 0
		.amdhsa_exception_fp_ieee_invalid_op 0
		.amdhsa_exception_fp_denorm_src 0
		.amdhsa_exception_fp_ieee_div_zero 0
		.amdhsa_exception_fp_ieee_overflow 0
		.amdhsa_exception_fp_ieee_underflow 0
		.amdhsa_exception_fp_ieee_inexact 0
		.amdhsa_exception_int_div_zero 0
	.end_amdhsa_kernel
	.section	.text._ZN7rocprim17ROCPRIM_400000_NS6detail17trampoline_kernelINS0_14default_configENS1_22reduce_config_selectorIfEEZNS1_11reduce_implILb1ES3_N6thrust23THRUST_200600_302600_NS11hip_rocprim26transform_input_iterator_tIfNS8_17counting_iteratorIiNS8_11use_defaultESC_SC_EE11estimate_piEEPffNS8_4plusIfEEEE10hipError_tPvRmT1_T2_T3_mT4_P12ihipStream_tbEUlT_E1_NS1_11comp_targetILNS1_3genE10ELNS1_11target_archE1201ELNS1_3gpuE5ELNS1_3repE0EEENS1_30default_config_static_selectorELNS0_4arch9wavefront6targetE0EEEvSM_,"axG",@progbits,_ZN7rocprim17ROCPRIM_400000_NS6detail17trampoline_kernelINS0_14default_configENS1_22reduce_config_selectorIfEEZNS1_11reduce_implILb1ES3_N6thrust23THRUST_200600_302600_NS11hip_rocprim26transform_input_iterator_tIfNS8_17counting_iteratorIiNS8_11use_defaultESC_SC_EE11estimate_piEEPffNS8_4plusIfEEEE10hipError_tPvRmT1_T2_T3_mT4_P12ihipStream_tbEUlT_E1_NS1_11comp_targetILNS1_3genE10ELNS1_11target_archE1201ELNS1_3gpuE5ELNS1_3repE0EEENS1_30default_config_static_selectorELNS0_4arch9wavefront6targetE0EEEvSM_,comdat
.Lfunc_end32:
	.size	_ZN7rocprim17ROCPRIM_400000_NS6detail17trampoline_kernelINS0_14default_configENS1_22reduce_config_selectorIfEEZNS1_11reduce_implILb1ES3_N6thrust23THRUST_200600_302600_NS11hip_rocprim26transform_input_iterator_tIfNS8_17counting_iteratorIiNS8_11use_defaultESC_SC_EE11estimate_piEEPffNS8_4plusIfEEEE10hipError_tPvRmT1_T2_T3_mT4_P12ihipStream_tbEUlT_E1_NS1_11comp_targetILNS1_3genE10ELNS1_11target_archE1201ELNS1_3gpuE5ELNS1_3repE0EEENS1_30default_config_static_selectorELNS0_4arch9wavefront6targetE0EEEvSM_, .Lfunc_end32-_ZN7rocprim17ROCPRIM_400000_NS6detail17trampoline_kernelINS0_14default_configENS1_22reduce_config_selectorIfEEZNS1_11reduce_implILb1ES3_N6thrust23THRUST_200600_302600_NS11hip_rocprim26transform_input_iterator_tIfNS8_17counting_iteratorIiNS8_11use_defaultESC_SC_EE11estimate_piEEPffNS8_4plusIfEEEE10hipError_tPvRmT1_T2_T3_mT4_P12ihipStream_tbEUlT_E1_NS1_11comp_targetILNS1_3genE10ELNS1_11target_archE1201ELNS1_3gpuE5ELNS1_3repE0EEENS1_30default_config_static_selectorELNS0_4arch9wavefront6targetE0EEEvSM_
                                        ; -- End function
	.set _ZN7rocprim17ROCPRIM_400000_NS6detail17trampoline_kernelINS0_14default_configENS1_22reduce_config_selectorIfEEZNS1_11reduce_implILb1ES3_N6thrust23THRUST_200600_302600_NS11hip_rocprim26transform_input_iterator_tIfNS8_17counting_iteratorIiNS8_11use_defaultESC_SC_EE11estimate_piEEPffNS8_4plusIfEEEE10hipError_tPvRmT1_T2_T3_mT4_P12ihipStream_tbEUlT_E1_NS1_11comp_targetILNS1_3genE10ELNS1_11target_archE1201ELNS1_3gpuE5ELNS1_3repE0EEENS1_30default_config_static_selectorELNS0_4arch9wavefront6targetE0EEEvSM_.num_vgpr, 0
	.set _ZN7rocprim17ROCPRIM_400000_NS6detail17trampoline_kernelINS0_14default_configENS1_22reduce_config_selectorIfEEZNS1_11reduce_implILb1ES3_N6thrust23THRUST_200600_302600_NS11hip_rocprim26transform_input_iterator_tIfNS8_17counting_iteratorIiNS8_11use_defaultESC_SC_EE11estimate_piEEPffNS8_4plusIfEEEE10hipError_tPvRmT1_T2_T3_mT4_P12ihipStream_tbEUlT_E1_NS1_11comp_targetILNS1_3genE10ELNS1_11target_archE1201ELNS1_3gpuE5ELNS1_3repE0EEENS1_30default_config_static_selectorELNS0_4arch9wavefront6targetE0EEEvSM_.num_agpr, 0
	.set _ZN7rocprim17ROCPRIM_400000_NS6detail17trampoline_kernelINS0_14default_configENS1_22reduce_config_selectorIfEEZNS1_11reduce_implILb1ES3_N6thrust23THRUST_200600_302600_NS11hip_rocprim26transform_input_iterator_tIfNS8_17counting_iteratorIiNS8_11use_defaultESC_SC_EE11estimate_piEEPffNS8_4plusIfEEEE10hipError_tPvRmT1_T2_T3_mT4_P12ihipStream_tbEUlT_E1_NS1_11comp_targetILNS1_3genE10ELNS1_11target_archE1201ELNS1_3gpuE5ELNS1_3repE0EEENS1_30default_config_static_selectorELNS0_4arch9wavefront6targetE0EEEvSM_.numbered_sgpr, 0
	.set _ZN7rocprim17ROCPRIM_400000_NS6detail17trampoline_kernelINS0_14default_configENS1_22reduce_config_selectorIfEEZNS1_11reduce_implILb1ES3_N6thrust23THRUST_200600_302600_NS11hip_rocprim26transform_input_iterator_tIfNS8_17counting_iteratorIiNS8_11use_defaultESC_SC_EE11estimate_piEEPffNS8_4plusIfEEEE10hipError_tPvRmT1_T2_T3_mT4_P12ihipStream_tbEUlT_E1_NS1_11comp_targetILNS1_3genE10ELNS1_11target_archE1201ELNS1_3gpuE5ELNS1_3repE0EEENS1_30default_config_static_selectorELNS0_4arch9wavefront6targetE0EEEvSM_.num_named_barrier, 0
	.set _ZN7rocprim17ROCPRIM_400000_NS6detail17trampoline_kernelINS0_14default_configENS1_22reduce_config_selectorIfEEZNS1_11reduce_implILb1ES3_N6thrust23THRUST_200600_302600_NS11hip_rocprim26transform_input_iterator_tIfNS8_17counting_iteratorIiNS8_11use_defaultESC_SC_EE11estimate_piEEPffNS8_4plusIfEEEE10hipError_tPvRmT1_T2_T3_mT4_P12ihipStream_tbEUlT_E1_NS1_11comp_targetILNS1_3genE10ELNS1_11target_archE1201ELNS1_3gpuE5ELNS1_3repE0EEENS1_30default_config_static_selectorELNS0_4arch9wavefront6targetE0EEEvSM_.private_seg_size, 0
	.set _ZN7rocprim17ROCPRIM_400000_NS6detail17trampoline_kernelINS0_14default_configENS1_22reduce_config_selectorIfEEZNS1_11reduce_implILb1ES3_N6thrust23THRUST_200600_302600_NS11hip_rocprim26transform_input_iterator_tIfNS8_17counting_iteratorIiNS8_11use_defaultESC_SC_EE11estimate_piEEPffNS8_4plusIfEEEE10hipError_tPvRmT1_T2_T3_mT4_P12ihipStream_tbEUlT_E1_NS1_11comp_targetILNS1_3genE10ELNS1_11target_archE1201ELNS1_3gpuE5ELNS1_3repE0EEENS1_30default_config_static_selectorELNS0_4arch9wavefront6targetE0EEEvSM_.uses_vcc, 0
	.set _ZN7rocprim17ROCPRIM_400000_NS6detail17trampoline_kernelINS0_14default_configENS1_22reduce_config_selectorIfEEZNS1_11reduce_implILb1ES3_N6thrust23THRUST_200600_302600_NS11hip_rocprim26transform_input_iterator_tIfNS8_17counting_iteratorIiNS8_11use_defaultESC_SC_EE11estimate_piEEPffNS8_4plusIfEEEE10hipError_tPvRmT1_T2_T3_mT4_P12ihipStream_tbEUlT_E1_NS1_11comp_targetILNS1_3genE10ELNS1_11target_archE1201ELNS1_3gpuE5ELNS1_3repE0EEENS1_30default_config_static_selectorELNS0_4arch9wavefront6targetE0EEEvSM_.uses_flat_scratch, 0
	.set _ZN7rocprim17ROCPRIM_400000_NS6detail17trampoline_kernelINS0_14default_configENS1_22reduce_config_selectorIfEEZNS1_11reduce_implILb1ES3_N6thrust23THRUST_200600_302600_NS11hip_rocprim26transform_input_iterator_tIfNS8_17counting_iteratorIiNS8_11use_defaultESC_SC_EE11estimate_piEEPffNS8_4plusIfEEEE10hipError_tPvRmT1_T2_T3_mT4_P12ihipStream_tbEUlT_E1_NS1_11comp_targetILNS1_3genE10ELNS1_11target_archE1201ELNS1_3gpuE5ELNS1_3repE0EEENS1_30default_config_static_selectorELNS0_4arch9wavefront6targetE0EEEvSM_.has_dyn_sized_stack, 0
	.set _ZN7rocprim17ROCPRIM_400000_NS6detail17trampoline_kernelINS0_14default_configENS1_22reduce_config_selectorIfEEZNS1_11reduce_implILb1ES3_N6thrust23THRUST_200600_302600_NS11hip_rocprim26transform_input_iterator_tIfNS8_17counting_iteratorIiNS8_11use_defaultESC_SC_EE11estimate_piEEPffNS8_4plusIfEEEE10hipError_tPvRmT1_T2_T3_mT4_P12ihipStream_tbEUlT_E1_NS1_11comp_targetILNS1_3genE10ELNS1_11target_archE1201ELNS1_3gpuE5ELNS1_3repE0EEENS1_30default_config_static_selectorELNS0_4arch9wavefront6targetE0EEEvSM_.has_recursion, 0
	.set _ZN7rocprim17ROCPRIM_400000_NS6detail17trampoline_kernelINS0_14default_configENS1_22reduce_config_selectorIfEEZNS1_11reduce_implILb1ES3_N6thrust23THRUST_200600_302600_NS11hip_rocprim26transform_input_iterator_tIfNS8_17counting_iteratorIiNS8_11use_defaultESC_SC_EE11estimate_piEEPffNS8_4plusIfEEEE10hipError_tPvRmT1_T2_T3_mT4_P12ihipStream_tbEUlT_E1_NS1_11comp_targetILNS1_3genE10ELNS1_11target_archE1201ELNS1_3gpuE5ELNS1_3repE0EEENS1_30default_config_static_selectorELNS0_4arch9wavefront6targetE0EEEvSM_.has_indirect_call, 0
	.section	.AMDGPU.csdata,"",@progbits
; Kernel info:
; codeLenInByte = 0
; TotalNumSgprs: 0
; NumVgprs: 0
; ScratchSize: 0
; MemoryBound: 0
; FloatMode: 240
; IeeeMode: 1
; LDSByteSize: 0 bytes/workgroup (compile time only)
; SGPRBlocks: 0
; VGPRBlocks: 0
; NumSGPRsForWavesPerEU: 1
; NumVGPRsForWavesPerEU: 1
; Occupancy: 16
; WaveLimiterHint : 0
; COMPUTE_PGM_RSRC2:SCRATCH_EN: 0
; COMPUTE_PGM_RSRC2:USER_SGPR: 6
; COMPUTE_PGM_RSRC2:TRAP_HANDLER: 0
; COMPUTE_PGM_RSRC2:TGID_X_EN: 1
; COMPUTE_PGM_RSRC2:TGID_Y_EN: 0
; COMPUTE_PGM_RSRC2:TGID_Z_EN: 0
; COMPUTE_PGM_RSRC2:TIDIG_COMP_CNT: 0
	.section	.text._ZN7rocprim17ROCPRIM_400000_NS6detail17trampoline_kernelINS0_14default_configENS1_22reduce_config_selectorIfEEZNS1_11reduce_implILb1ES3_N6thrust23THRUST_200600_302600_NS11hip_rocprim26transform_input_iterator_tIfNS8_17counting_iteratorIiNS8_11use_defaultESC_SC_EE11estimate_piEEPffNS8_4plusIfEEEE10hipError_tPvRmT1_T2_T3_mT4_P12ihipStream_tbEUlT_E1_NS1_11comp_targetILNS1_3genE10ELNS1_11target_archE1200ELNS1_3gpuE4ELNS1_3repE0EEENS1_30default_config_static_selectorELNS0_4arch9wavefront6targetE0EEEvSM_,"axG",@progbits,_ZN7rocprim17ROCPRIM_400000_NS6detail17trampoline_kernelINS0_14default_configENS1_22reduce_config_selectorIfEEZNS1_11reduce_implILb1ES3_N6thrust23THRUST_200600_302600_NS11hip_rocprim26transform_input_iterator_tIfNS8_17counting_iteratorIiNS8_11use_defaultESC_SC_EE11estimate_piEEPffNS8_4plusIfEEEE10hipError_tPvRmT1_T2_T3_mT4_P12ihipStream_tbEUlT_E1_NS1_11comp_targetILNS1_3genE10ELNS1_11target_archE1200ELNS1_3gpuE4ELNS1_3repE0EEENS1_30default_config_static_selectorELNS0_4arch9wavefront6targetE0EEEvSM_,comdat
	.protected	_ZN7rocprim17ROCPRIM_400000_NS6detail17trampoline_kernelINS0_14default_configENS1_22reduce_config_selectorIfEEZNS1_11reduce_implILb1ES3_N6thrust23THRUST_200600_302600_NS11hip_rocprim26transform_input_iterator_tIfNS8_17counting_iteratorIiNS8_11use_defaultESC_SC_EE11estimate_piEEPffNS8_4plusIfEEEE10hipError_tPvRmT1_T2_T3_mT4_P12ihipStream_tbEUlT_E1_NS1_11comp_targetILNS1_3genE10ELNS1_11target_archE1200ELNS1_3gpuE4ELNS1_3repE0EEENS1_30default_config_static_selectorELNS0_4arch9wavefront6targetE0EEEvSM_ ; -- Begin function _ZN7rocprim17ROCPRIM_400000_NS6detail17trampoline_kernelINS0_14default_configENS1_22reduce_config_selectorIfEEZNS1_11reduce_implILb1ES3_N6thrust23THRUST_200600_302600_NS11hip_rocprim26transform_input_iterator_tIfNS8_17counting_iteratorIiNS8_11use_defaultESC_SC_EE11estimate_piEEPffNS8_4plusIfEEEE10hipError_tPvRmT1_T2_T3_mT4_P12ihipStream_tbEUlT_E1_NS1_11comp_targetILNS1_3genE10ELNS1_11target_archE1200ELNS1_3gpuE4ELNS1_3repE0EEENS1_30default_config_static_selectorELNS0_4arch9wavefront6targetE0EEEvSM_
	.globl	_ZN7rocprim17ROCPRIM_400000_NS6detail17trampoline_kernelINS0_14default_configENS1_22reduce_config_selectorIfEEZNS1_11reduce_implILb1ES3_N6thrust23THRUST_200600_302600_NS11hip_rocprim26transform_input_iterator_tIfNS8_17counting_iteratorIiNS8_11use_defaultESC_SC_EE11estimate_piEEPffNS8_4plusIfEEEE10hipError_tPvRmT1_T2_T3_mT4_P12ihipStream_tbEUlT_E1_NS1_11comp_targetILNS1_3genE10ELNS1_11target_archE1200ELNS1_3gpuE4ELNS1_3repE0EEENS1_30default_config_static_selectorELNS0_4arch9wavefront6targetE0EEEvSM_
	.p2align	8
	.type	_ZN7rocprim17ROCPRIM_400000_NS6detail17trampoline_kernelINS0_14default_configENS1_22reduce_config_selectorIfEEZNS1_11reduce_implILb1ES3_N6thrust23THRUST_200600_302600_NS11hip_rocprim26transform_input_iterator_tIfNS8_17counting_iteratorIiNS8_11use_defaultESC_SC_EE11estimate_piEEPffNS8_4plusIfEEEE10hipError_tPvRmT1_T2_T3_mT4_P12ihipStream_tbEUlT_E1_NS1_11comp_targetILNS1_3genE10ELNS1_11target_archE1200ELNS1_3gpuE4ELNS1_3repE0EEENS1_30default_config_static_selectorELNS0_4arch9wavefront6targetE0EEEvSM_,@function
_ZN7rocprim17ROCPRIM_400000_NS6detail17trampoline_kernelINS0_14default_configENS1_22reduce_config_selectorIfEEZNS1_11reduce_implILb1ES3_N6thrust23THRUST_200600_302600_NS11hip_rocprim26transform_input_iterator_tIfNS8_17counting_iteratorIiNS8_11use_defaultESC_SC_EE11estimate_piEEPffNS8_4plusIfEEEE10hipError_tPvRmT1_T2_T3_mT4_P12ihipStream_tbEUlT_E1_NS1_11comp_targetILNS1_3genE10ELNS1_11target_archE1200ELNS1_3gpuE4ELNS1_3repE0EEENS1_30default_config_static_selectorELNS0_4arch9wavefront6targetE0EEEvSM_: ; @_ZN7rocprim17ROCPRIM_400000_NS6detail17trampoline_kernelINS0_14default_configENS1_22reduce_config_selectorIfEEZNS1_11reduce_implILb1ES3_N6thrust23THRUST_200600_302600_NS11hip_rocprim26transform_input_iterator_tIfNS8_17counting_iteratorIiNS8_11use_defaultESC_SC_EE11estimate_piEEPffNS8_4plusIfEEEE10hipError_tPvRmT1_T2_T3_mT4_P12ihipStream_tbEUlT_E1_NS1_11comp_targetILNS1_3genE10ELNS1_11target_archE1200ELNS1_3gpuE4ELNS1_3repE0EEENS1_30default_config_static_selectorELNS0_4arch9wavefront6targetE0EEEvSM_
; %bb.0:
	.section	.rodata,"a",@progbits
	.p2align	6, 0x0
	.amdhsa_kernel _ZN7rocprim17ROCPRIM_400000_NS6detail17trampoline_kernelINS0_14default_configENS1_22reduce_config_selectorIfEEZNS1_11reduce_implILb1ES3_N6thrust23THRUST_200600_302600_NS11hip_rocprim26transform_input_iterator_tIfNS8_17counting_iteratorIiNS8_11use_defaultESC_SC_EE11estimate_piEEPffNS8_4plusIfEEEE10hipError_tPvRmT1_T2_T3_mT4_P12ihipStream_tbEUlT_E1_NS1_11comp_targetILNS1_3genE10ELNS1_11target_archE1200ELNS1_3gpuE4ELNS1_3repE0EEENS1_30default_config_static_selectorELNS0_4arch9wavefront6targetE0EEEvSM_
		.amdhsa_group_segment_fixed_size 0
		.amdhsa_private_segment_fixed_size 0
		.amdhsa_kernarg_size 40
		.amdhsa_user_sgpr_count 6
		.amdhsa_user_sgpr_private_segment_buffer 1
		.amdhsa_user_sgpr_dispatch_ptr 0
		.amdhsa_user_sgpr_queue_ptr 0
		.amdhsa_user_sgpr_kernarg_segment_ptr 1
		.amdhsa_user_sgpr_dispatch_id 0
		.amdhsa_user_sgpr_flat_scratch_init 0
		.amdhsa_user_sgpr_private_segment_size 0
		.amdhsa_wavefront_size32 1
		.amdhsa_uses_dynamic_stack 0
		.amdhsa_system_sgpr_private_segment_wavefront_offset 0
		.amdhsa_system_sgpr_workgroup_id_x 1
		.amdhsa_system_sgpr_workgroup_id_y 0
		.amdhsa_system_sgpr_workgroup_id_z 0
		.amdhsa_system_sgpr_workgroup_info 0
		.amdhsa_system_vgpr_workitem_id 0
		.amdhsa_next_free_vgpr 1
		.amdhsa_next_free_sgpr 1
		.amdhsa_reserve_vcc 0
		.amdhsa_reserve_flat_scratch 0
		.amdhsa_float_round_mode_32 0
		.amdhsa_float_round_mode_16_64 0
		.amdhsa_float_denorm_mode_32 3
		.amdhsa_float_denorm_mode_16_64 3
		.amdhsa_dx10_clamp 1
		.amdhsa_ieee_mode 1
		.amdhsa_fp16_overflow 0
		.amdhsa_workgroup_processor_mode 1
		.amdhsa_memory_ordered 1
		.amdhsa_forward_progress 1
		.amdhsa_shared_vgpr_count 0
		.amdhsa_exception_fp_ieee_invalid_op 0
		.amdhsa_exception_fp_denorm_src 0
		.amdhsa_exception_fp_ieee_div_zero 0
		.amdhsa_exception_fp_ieee_overflow 0
		.amdhsa_exception_fp_ieee_underflow 0
		.amdhsa_exception_fp_ieee_inexact 0
		.amdhsa_exception_int_div_zero 0
	.end_amdhsa_kernel
	.section	.text._ZN7rocprim17ROCPRIM_400000_NS6detail17trampoline_kernelINS0_14default_configENS1_22reduce_config_selectorIfEEZNS1_11reduce_implILb1ES3_N6thrust23THRUST_200600_302600_NS11hip_rocprim26transform_input_iterator_tIfNS8_17counting_iteratorIiNS8_11use_defaultESC_SC_EE11estimate_piEEPffNS8_4plusIfEEEE10hipError_tPvRmT1_T2_T3_mT4_P12ihipStream_tbEUlT_E1_NS1_11comp_targetILNS1_3genE10ELNS1_11target_archE1200ELNS1_3gpuE4ELNS1_3repE0EEENS1_30default_config_static_selectorELNS0_4arch9wavefront6targetE0EEEvSM_,"axG",@progbits,_ZN7rocprim17ROCPRIM_400000_NS6detail17trampoline_kernelINS0_14default_configENS1_22reduce_config_selectorIfEEZNS1_11reduce_implILb1ES3_N6thrust23THRUST_200600_302600_NS11hip_rocprim26transform_input_iterator_tIfNS8_17counting_iteratorIiNS8_11use_defaultESC_SC_EE11estimate_piEEPffNS8_4plusIfEEEE10hipError_tPvRmT1_T2_T3_mT4_P12ihipStream_tbEUlT_E1_NS1_11comp_targetILNS1_3genE10ELNS1_11target_archE1200ELNS1_3gpuE4ELNS1_3repE0EEENS1_30default_config_static_selectorELNS0_4arch9wavefront6targetE0EEEvSM_,comdat
.Lfunc_end33:
	.size	_ZN7rocprim17ROCPRIM_400000_NS6detail17trampoline_kernelINS0_14default_configENS1_22reduce_config_selectorIfEEZNS1_11reduce_implILb1ES3_N6thrust23THRUST_200600_302600_NS11hip_rocprim26transform_input_iterator_tIfNS8_17counting_iteratorIiNS8_11use_defaultESC_SC_EE11estimate_piEEPffNS8_4plusIfEEEE10hipError_tPvRmT1_T2_T3_mT4_P12ihipStream_tbEUlT_E1_NS1_11comp_targetILNS1_3genE10ELNS1_11target_archE1200ELNS1_3gpuE4ELNS1_3repE0EEENS1_30default_config_static_selectorELNS0_4arch9wavefront6targetE0EEEvSM_, .Lfunc_end33-_ZN7rocprim17ROCPRIM_400000_NS6detail17trampoline_kernelINS0_14default_configENS1_22reduce_config_selectorIfEEZNS1_11reduce_implILb1ES3_N6thrust23THRUST_200600_302600_NS11hip_rocprim26transform_input_iterator_tIfNS8_17counting_iteratorIiNS8_11use_defaultESC_SC_EE11estimate_piEEPffNS8_4plusIfEEEE10hipError_tPvRmT1_T2_T3_mT4_P12ihipStream_tbEUlT_E1_NS1_11comp_targetILNS1_3genE10ELNS1_11target_archE1200ELNS1_3gpuE4ELNS1_3repE0EEENS1_30default_config_static_selectorELNS0_4arch9wavefront6targetE0EEEvSM_
                                        ; -- End function
	.set _ZN7rocprim17ROCPRIM_400000_NS6detail17trampoline_kernelINS0_14default_configENS1_22reduce_config_selectorIfEEZNS1_11reduce_implILb1ES3_N6thrust23THRUST_200600_302600_NS11hip_rocprim26transform_input_iterator_tIfNS8_17counting_iteratorIiNS8_11use_defaultESC_SC_EE11estimate_piEEPffNS8_4plusIfEEEE10hipError_tPvRmT1_T2_T3_mT4_P12ihipStream_tbEUlT_E1_NS1_11comp_targetILNS1_3genE10ELNS1_11target_archE1200ELNS1_3gpuE4ELNS1_3repE0EEENS1_30default_config_static_selectorELNS0_4arch9wavefront6targetE0EEEvSM_.num_vgpr, 0
	.set _ZN7rocprim17ROCPRIM_400000_NS6detail17trampoline_kernelINS0_14default_configENS1_22reduce_config_selectorIfEEZNS1_11reduce_implILb1ES3_N6thrust23THRUST_200600_302600_NS11hip_rocprim26transform_input_iterator_tIfNS8_17counting_iteratorIiNS8_11use_defaultESC_SC_EE11estimate_piEEPffNS8_4plusIfEEEE10hipError_tPvRmT1_T2_T3_mT4_P12ihipStream_tbEUlT_E1_NS1_11comp_targetILNS1_3genE10ELNS1_11target_archE1200ELNS1_3gpuE4ELNS1_3repE0EEENS1_30default_config_static_selectorELNS0_4arch9wavefront6targetE0EEEvSM_.num_agpr, 0
	.set _ZN7rocprim17ROCPRIM_400000_NS6detail17trampoline_kernelINS0_14default_configENS1_22reduce_config_selectorIfEEZNS1_11reduce_implILb1ES3_N6thrust23THRUST_200600_302600_NS11hip_rocprim26transform_input_iterator_tIfNS8_17counting_iteratorIiNS8_11use_defaultESC_SC_EE11estimate_piEEPffNS8_4plusIfEEEE10hipError_tPvRmT1_T2_T3_mT4_P12ihipStream_tbEUlT_E1_NS1_11comp_targetILNS1_3genE10ELNS1_11target_archE1200ELNS1_3gpuE4ELNS1_3repE0EEENS1_30default_config_static_selectorELNS0_4arch9wavefront6targetE0EEEvSM_.numbered_sgpr, 0
	.set _ZN7rocprim17ROCPRIM_400000_NS6detail17trampoline_kernelINS0_14default_configENS1_22reduce_config_selectorIfEEZNS1_11reduce_implILb1ES3_N6thrust23THRUST_200600_302600_NS11hip_rocprim26transform_input_iterator_tIfNS8_17counting_iteratorIiNS8_11use_defaultESC_SC_EE11estimate_piEEPffNS8_4plusIfEEEE10hipError_tPvRmT1_T2_T3_mT4_P12ihipStream_tbEUlT_E1_NS1_11comp_targetILNS1_3genE10ELNS1_11target_archE1200ELNS1_3gpuE4ELNS1_3repE0EEENS1_30default_config_static_selectorELNS0_4arch9wavefront6targetE0EEEvSM_.num_named_barrier, 0
	.set _ZN7rocprim17ROCPRIM_400000_NS6detail17trampoline_kernelINS0_14default_configENS1_22reduce_config_selectorIfEEZNS1_11reduce_implILb1ES3_N6thrust23THRUST_200600_302600_NS11hip_rocprim26transform_input_iterator_tIfNS8_17counting_iteratorIiNS8_11use_defaultESC_SC_EE11estimate_piEEPffNS8_4plusIfEEEE10hipError_tPvRmT1_T2_T3_mT4_P12ihipStream_tbEUlT_E1_NS1_11comp_targetILNS1_3genE10ELNS1_11target_archE1200ELNS1_3gpuE4ELNS1_3repE0EEENS1_30default_config_static_selectorELNS0_4arch9wavefront6targetE0EEEvSM_.private_seg_size, 0
	.set _ZN7rocprim17ROCPRIM_400000_NS6detail17trampoline_kernelINS0_14default_configENS1_22reduce_config_selectorIfEEZNS1_11reduce_implILb1ES3_N6thrust23THRUST_200600_302600_NS11hip_rocprim26transform_input_iterator_tIfNS8_17counting_iteratorIiNS8_11use_defaultESC_SC_EE11estimate_piEEPffNS8_4plusIfEEEE10hipError_tPvRmT1_T2_T3_mT4_P12ihipStream_tbEUlT_E1_NS1_11comp_targetILNS1_3genE10ELNS1_11target_archE1200ELNS1_3gpuE4ELNS1_3repE0EEENS1_30default_config_static_selectorELNS0_4arch9wavefront6targetE0EEEvSM_.uses_vcc, 0
	.set _ZN7rocprim17ROCPRIM_400000_NS6detail17trampoline_kernelINS0_14default_configENS1_22reduce_config_selectorIfEEZNS1_11reduce_implILb1ES3_N6thrust23THRUST_200600_302600_NS11hip_rocprim26transform_input_iterator_tIfNS8_17counting_iteratorIiNS8_11use_defaultESC_SC_EE11estimate_piEEPffNS8_4plusIfEEEE10hipError_tPvRmT1_T2_T3_mT4_P12ihipStream_tbEUlT_E1_NS1_11comp_targetILNS1_3genE10ELNS1_11target_archE1200ELNS1_3gpuE4ELNS1_3repE0EEENS1_30default_config_static_selectorELNS0_4arch9wavefront6targetE0EEEvSM_.uses_flat_scratch, 0
	.set _ZN7rocprim17ROCPRIM_400000_NS6detail17trampoline_kernelINS0_14default_configENS1_22reduce_config_selectorIfEEZNS1_11reduce_implILb1ES3_N6thrust23THRUST_200600_302600_NS11hip_rocprim26transform_input_iterator_tIfNS8_17counting_iteratorIiNS8_11use_defaultESC_SC_EE11estimate_piEEPffNS8_4plusIfEEEE10hipError_tPvRmT1_T2_T3_mT4_P12ihipStream_tbEUlT_E1_NS1_11comp_targetILNS1_3genE10ELNS1_11target_archE1200ELNS1_3gpuE4ELNS1_3repE0EEENS1_30default_config_static_selectorELNS0_4arch9wavefront6targetE0EEEvSM_.has_dyn_sized_stack, 0
	.set _ZN7rocprim17ROCPRIM_400000_NS6detail17trampoline_kernelINS0_14default_configENS1_22reduce_config_selectorIfEEZNS1_11reduce_implILb1ES3_N6thrust23THRUST_200600_302600_NS11hip_rocprim26transform_input_iterator_tIfNS8_17counting_iteratorIiNS8_11use_defaultESC_SC_EE11estimate_piEEPffNS8_4plusIfEEEE10hipError_tPvRmT1_T2_T3_mT4_P12ihipStream_tbEUlT_E1_NS1_11comp_targetILNS1_3genE10ELNS1_11target_archE1200ELNS1_3gpuE4ELNS1_3repE0EEENS1_30default_config_static_selectorELNS0_4arch9wavefront6targetE0EEEvSM_.has_recursion, 0
	.set _ZN7rocprim17ROCPRIM_400000_NS6detail17trampoline_kernelINS0_14default_configENS1_22reduce_config_selectorIfEEZNS1_11reduce_implILb1ES3_N6thrust23THRUST_200600_302600_NS11hip_rocprim26transform_input_iterator_tIfNS8_17counting_iteratorIiNS8_11use_defaultESC_SC_EE11estimate_piEEPffNS8_4plusIfEEEE10hipError_tPvRmT1_T2_T3_mT4_P12ihipStream_tbEUlT_E1_NS1_11comp_targetILNS1_3genE10ELNS1_11target_archE1200ELNS1_3gpuE4ELNS1_3repE0EEENS1_30default_config_static_selectorELNS0_4arch9wavefront6targetE0EEEvSM_.has_indirect_call, 0
	.section	.AMDGPU.csdata,"",@progbits
; Kernel info:
; codeLenInByte = 0
; TotalNumSgprs: 0
; NumVgprs: 0
; ScratchSize: 0
; MemoryBound: 0
; FloatMode: 240
; IeeeMode: 1
; LDSByteSize: 0 bytes/workgroup (compile time only)
; SGPRBlocks: 0
; VGPRBlocks: 0
; NumSGPRsForWavesPerEU: 1
; NumVGPRsForWavesPerEU: 1
; Occupancy: 16
; WaveLimiterHint : 0
; COMPUTE_PGM_RSRC2:SCRATCH_EN: 0
; COMPUTE_PGM_RSRC2:USER_SGPR: 6
; COMPUTE_PGM_RSRC2:TRAP_HANDLER: 0
; COMPUTE_PGM_RSRC2:TGID_X_EN: 1
; COMPUTE_PGM_RSRC2:TGID_Y_EN: 0
; COMPUTE_PGM_RSRC2:TGID_Z_EN: 0
; COMPUTE_PGM_RSRC2:TIDIG_COMP_CNT: 0
	.section	.text._ZN7rocprim17ROCPRIM_400000_NS6detail17trampoline_kernelINS0_14default_configENS1_22reduce_config_selectorIfEEZNS1_11reduce_implILb1ES3_N6thrust23THRUST_200600_302600_NS11hip_rocprim26transform_input_iterator_tIfNS8_17counting_iteratorIiNS8_11use_defaultESC_SC_EE11estimate_piEEPffNS8_4plusIfEEEE10hipError_tPvRmT1_T2_T3_mT4_P12ihipStream_tbEUlT_E1_NS1_11comp_targetILNS1_3genE9ELNS1_11target_archE1100ELNS1_3gpuE3ELNS1_3repE0EEENS1_30default_config_static_selectorELNS0_4arch9wavefront6targetE0EEEvSM_,"axG",@progbits,_ZN7rocprim17ROCPRIM_400000_NS6detail17trampoline_kernelINS0_14default_configENS1_22reduce_config_selectorIfEEZNS1_11reduce_implILb1ES3_N6thrust23THRUST_200600_302600_NS11hip_rocprim26transform_input_iterator_tIfNS8_17counting_iteratorIiNS8_11use_defaultESC_SC_EE11estimate_piEEPffNS8_4plusIfEEEE10hipError_tPvRmT1_T2_T3_mT4_P12ihipStream_tbEUlT_E1_NS1_11comp_targetILNS1_3genE9ELNS1_11target_archE1100ELNS1_3gpuE3ELNS1_3repE0EEENS1_30default_config_static_selectorELNS0_4arch9wavefront6targetE0EEEvSM_,comdat
	.protected	_ZN7rocprim17ROCPRIM_400000_NS6detail17trampoline_kernelINS0_14default_configENS1_22reduce_config_selectorIfEEZNS1_11reduce_implILb1ES3_N6thrust23THRUST_200600_302600_NS11hip_rocprim26transform_input_iterator_tIfNS8_17counting_iteratorIiNS8_11use_defaultESC_SC_EE11estimate_piEEPffNS8_4plusIfEEEE10hipError_tPvRmT1_T2_T3_mT4_P12ihipStream_tbEUlT_E1_NS1_11comp_targetILNS1_3genE9ELNS1_11target_archE1100ELNS1_3gpuE3ELNS1_3repE0EEENS1_30default_config_static_selectorELNS0_4arch9wavefront6targetE0EEEvSM_ ; -- Begin function _ZN7rocprim17ROCPRIM_400000_NS6detail17trampoline_kernelINS0_14default_configENS1_22reduce_config_selectorIfEEZNS1_11reduce_implILb1ES3_N6thrust23THRUST_200600_302600_NS11hip_rocprim26transform_input_iterator_tIfNS8_17counting_iteratorIiNS8_11use_defaultESC_SC_EE11estimate_piEEPffNS8_4plusIfEEEE10hipError_tPvRmT1_T2_T3_mT4_P12ihipStream_tbEUlT_E1_NS1_11comp_targetILNS1_3genE9ELNS1_11target_archE1100ELNS1_3gpuE3ELNS1_3repE0EEENS1_30default_config_static_selectorELNS0_4arch9wavefront6targetE0EEEvSM_
	.globl	_ZN7rocprim17ROCPRIM_400000_NS6detail17trampoline_kernelINS0_14default_configENS1_22reduce_config_selectorIfEEZNS1_11reduce_implILb1ES3_N6thrust23THRUST_200600_302600_NS11hip_rocprim26transform_input_iterator_tIfNS8_17counting_iteratorIiNS8_11use_defaultESC_SC_EE11estimate_piEEPffNS8_4plusIfEEEE10hipError_tPvRmT1_T2_T3_mT4_P12ihipStream_tbEUlT_E1_NS1_11comp_targetILNS1_3genE9ELNS1_11target_archE1100ELNS1_3gpuE3ELNS1_3repE0EEENS1_30default_config_static_selectorELNS0_4arch9wavefront6targetE0EEEvSM_
	.p2align	8
	.type	_ZN7rocprim17ROCPRIM_400000_NS6detail17trampoline_kernelINS0_14default_configENS1_22reduce_config_selectorIfEEZNS1_11reduce_implILb1ES3_N6thrust23THRUST_200600_302600_NS11hip_rocprim26transform_input_iterator_tIfNS8_17counting_iteratorIiNS8_11use_defaultESC_SC_EE11estimate_piEEPffNS8_4plusIfEEEE10hipError_tPvRmT1_T2_T3_mT4_P12ihipStream_tbEUlT_E1_NS1_11comp_targetILNS1_3genE9ELNS1_11target_archE1100ELNS1_3gpuE3ELNS1_3repE0EEENS1_30default_config_static_selectorELNS0_4arch9wavefront6targetE0EEEvSM_,@function
_ZN7rocprim17ROCPRIM_400000_NS6detail17trampoline_kernelINS0_14default_configENS1_22reduce_config_selectorIfEEZNS1_11reduce_implILb1ES3_N6thrust23THRUST_200600_302600_NS11hip_rocprim26transform_input_iterator_tIfNS8_17counting_iteratorIiNS8_11use_defaultESC_SC_EE11estimate_piEEPffNS8_4plusIfEEEE10hipError_tPvRmT1_T2_T3_mT4_P12ihipStream_tbEUlT_E1_NS1_11comp_targetILNS1_3genE9ELNS1_11target_archE1100ELNS1_3gpuE3ELNS1_3repE0EEENS1_30default_config_static_selectorELNS0_4arch9wavefront6targetE0EEEvSM_: ; @_ZN7rocprim17ROCPRIM_400000_NS6detail17trampoline_kernelINS0_14default_configENS1_22reduce_config_selectorIfEEZNS1_11reduce_implILb1ES3_N6thrust23THRUST_200600_302600_NS11hip_rocprim26transform_input_iterator_tIfNS8_17counting_iteratorIiNS8_11use_defaultESC_SC_EE11estimate_piEEPffNS8_4plusIfEEEE10hipError_tPvRmT1_T2_T3_mT4_P12ihipStream_tbEUlT_E1_NS1_11comp_targetILNS1_3genE9ELNS1_11target_archE1100ELNS1_3gpuE3ELNS1_3repE0EEENS1_30default_config_static_selectorELNS0_4arch9wavefront6targetE0EEEvSM_
; %bb.0:
	.section	.rodata,"a",@progbits
	.p2align	6, 0x0
	.amdhsa_kernel _ZN7rocprim17ROCPRIM_400000_NS6detail17trampoline_kernelINS0_14default_configENS1_22reduce_config_selectorIfEEZNS1_11reduce_implILb1ES3_N6thrust23THRUST_200600_302600_NS11hip_rocprim26transform_input_iterator_tIfNS8_17counting_iteratorIiNS8_11use_defaultESC_SC_EE11estimate_piEEPffNS8_4plusIfEEEE10hipError_tPvRmT1_T2_T3_mT4_P12ihipStream_tbEUlT_E1_NS1_11comp_targetILNS1_3genE9ELNS1_11target_archE1100ELNS1_3gpuE3ELNS1_3repE0EEENS1_30default_config_static_selectorELNS0_4arch9wavefront6targetE0EEEvSM_
		.amdhsa_group_segment_fixed_size 0
		.amdhsa_private_segment_fixed_size 0
		.amdhsa_kernarg_size 40
		.amdhsa_user_sgpr_count 6
		.amdhsa_user_sgpr_private_segment_buffer 1
		.amdhsa_user_sgpr_dispatch_ptr 0
		.amdhsa_user_sgpr_queue_ptr 0
		.amdhsa_user_sgpr_kernarg_segment_ptr 1
		.amdhsa_user_sgpr_dispatch_id 0
		.amdhsa_user_sgpr_flat_scratch_init 0
		.amdhsa_user_sgpr_private_segment_size 0
		.amdhsa_wavefront_size32 1
		.amdhsa_uses_dynamic_stack 0
		.amdhsa_system_sgpr_private_segment_wavefront_offset 0
		.amdhsa_system_sgpr_workgroup_id_x 1
		.amdhsa_system_sgpr_workgroup_id_y 0
		.amdhsa_system_sgpr_workgroup_id_z 0
		.amdhsa_system_sgpr_workgroup_info 0
		.amdhsa_system_vgpr_workitem_id 0
		.amdhsa_next_free_vgpr 1
		.amdhsa_next_free_sgpr 1
		.amdhsa_reserve_vcc 0
		.amdhsa_reserve_flat_scratch 0
		.amdhsa_float_round_mode_32 0
		.amdhsa_float_round_mode_16_64 0
		.amdhsa_float_denorm_mode_32 3
		.amdhsa_float_denorm_mode_16_64 3
		.amdhsa_dx10_clamp 1
		.amdhsa_ieee_mode 1
		.amdhsa_fp16_overflow 0
		.amdhsa_workgroup_processor_mode 1
		.amdhsa_memory_ordered 1
		.amdhsa_forward_progress 1
		.amdhsa_shared_vgpr_count 0
		.amdhsa_exception_fp_ieee_invalid_op 0
		.amdhsa_exception_fp_denorm_src 0
		.amdhsa_exception_fp_ieee_div_zero 0
		.amdhsa_exception_fp_ieee_overflow 0
		.amdhsa_exception_fp_ieee_underflow 0
		.amdhsa_exception_fp_ieee_inexact 0
		.amdhsa_exception_int_div_zero 0
	.end_amdhsa_kernel
	.section	.text._ZN7rocprim17ROCPRIM_400000_NS6detail17trampoline_kernelINS0_14default_configENS1_22reduce_config_selectorIfEEZNS1_11reduce_implILb1ES3_N6thrust23THRUST_200600_302600_NS11hip_rocprim26transform_input_iterator_tIfNS8_17counting_iteratorIiNS8_11use_defaultESC_SC_EE11estimate_piEEPffNS8_4plusIfEEEE10hipError_tPvRmT1_T2_T3_mT4_P12ihipStream_tbEUlT_E1_NS1_11comp_targetILNS1_3genE9ELNS1_11target_archE1100ELNS1_3gpuE3ELNS1_3repE0EEENS1_30default_config_static_selectorELNS0_4arch9wavefront6targetE0EEEvSM_,"axG",@progbits,_ZN7rocprim17ROCPRIM_400000_NS6detail17trampoline_kernelINS0_14default_configENS1_22reduce_config_selectorIfEEZNS1_11reduce_implILb1ES3_N6thrust23THRUST_200600_302600_NS11hip_rocprim26transform_input_iterator_tIfNS8_17counting_iteratorIiNS8_11use_defaultESC_SC_EE11estimate_piEEPffNS8_4plusIfEEEE10hipError_tPvRmT1_T2_T3_mT4_P12ihipStream_tbEUlT_E1_NS1_11comp_targetILNS1_3genE9ELNS1_11target_archE1100ELNS1_3gpuE3ELNS1_3repE0EEENS1_30default_config_static_selectorELNS0_4arch9wavefront6targetE0EEEvSM_,comdat
.Lfunc_end34:
	.size	_ZN7rocprim17ROCPRIM_400000_NS6detail17trampoline_kernelINS0_14default_configENS1_22reduce_config_selectorIfEEZNS1_11reduce_implILb1ES3_N6thrust23THRUST_200600_302600_NS11hip_rocprim26transform_input_iterator_tIfNS8_17counting_iteratorIiNS8_11use_defaultESC_SC_EE11estimate_piEEPffNS8_4plusIfEEEE10hipError_tPvRmT1_T2_T3_mT4_P12ihipStream_tbEUlT_E1_NS1_11comp_targetILNS1_3genE9ELNS1_11target_archE1100ELNS1_3gpuE3ELNS1_3repE0EEENS1_30default_config_static_selectorELNS0_4arch9wavefront6targetE0EEEvSM_, .Lfunc_end34-_ZN7rocprim17ROCPRIM_400000_NS6detail17trampoline_kernelINS0_14default_configENS1_22reduce_config_selectorIfEEZNS1_11reduce_implILb1ES3_N6thrust23THRUST_200600_302600_NS11hip_rocprim26transform_input_iterator_tIfNS8_17counting_iteratorIiNS8_11use_defaultESC_SC_EE11estimate_piEEPffNS8_4plusIfEEEE10hipError_tPvRmT1_T2_T3_mT4_P12ihipStream_tbEUlT_E1_NS1_11comp_targetILNS1_3genE9ELNS1_11target_archE1100ELNS1_3gpuE3ELNS1_3repE0EEENS1_30default_config_static_selectorELNS0_4arch9wavefront6targetE0EEEvSM_
                                        ; -- End function
	.set _ZN7rocprim17ROCPRIM_400000_NS6detail17trampoline_kernelINS0_14default_configENS1_22reduce_config_selectorIfEEZNS1_11reduce_implILb1ES3_N6thrust23THRUST_200600_302600_NS11hip_rocprim26transform_input_iterator_tIfNS8_17counting_iteratorIiNS8_11use_defaultESC_SC_EE11estimate_piEEPffNS8_4plusIfEEEE10hipError_tPvRmT1_T2_T3_mT4_P12ihipStream_tbEUlT_E1_NS1_11comp_targetILNS1_3genE9ELNS1_11target_archE1100ELNS1_3gpuE3ELNS1_3repE0EEENS1_30default_config_static_selectorELNS0_4arch9wavefront6targetE0EEEvSM_.num_vgpr, 0
	.set _ZN7rocprim17ROCPRIM_400000_NS6detail17trampoline_kernelINS0_14default_configENS1_22reduce_config_selectorIfEEZNS1_11reduce_implILb1ES3_N6thrust23THRUST_200600_302600_NS11hip_rocprim26transform_input_iterator_tIfNS8_17counting_iteratorIiNS8_11use_defaultESC_SC_EE11estimate_piEEPffNS8_4plusIfEEEE10hipError_tPvRmT1_T2_T3_mT4_P12ihipStream_tbEUlT_E1_NS1_11comp_targetILNS1_3genE9ELNS1_11target_archE1100ELNS1_3gpuE3ELNS1_3repE0EEENS1_30default_config_static_selectorELNS0_4arch9wavefront6targetE0EEEvSM_.num_agpr, 0
	.set _ZN7rocprim17ROCPRIM_400000_NS6detail17trampoline_kernelINS0_14default_configENS1_22reduce_config_selectorIfEEZNS1_11reduce_implILb1ES3_N6thrust23THRUST_200600_302600_NS11hip_rocprim26transform_input_iterator_tIfNS8_17counting_iteratorIiNS8_11use_defaultESC_SC_EE11estimate_piEEPffNS8_4plusIfEEEE10hipError_tPvRmT1_T2_T3_mT4_P12ihipStream_tbEUlT_E1_NS1_11comp_targetILNS1_3genE9ELNS1_11target_archE1100ELNS1_3gpuE3ELNS1_3repE0EEENS1_30default_config_static_selectorELNS0_4arch9wavefront6targetE0EEEvSM_.numbered_sgpr, 0
	.set _ZN7rocprim17ROCPRIM_400000_NS6detail17trampoline_kernelINS0_14default_configENS1_22reduce_config_selectorIfEEZNS1_11reduce_implILb1ES3_N6thrust23THRUST_200600_302600_NS11hip_rocprim26transform_input_iterator_tIfNS8_17counting_iteratorIiNS8_11use_defaultESC_SC_EE11estimate_piEEPffNS8_4plusIfEEEE10hipError_tPvRmT1_T2_T3_mT4_P12ihipStream_tbEUlT_E1_NS1_11comp_targetILNS1_3genE9ELNS1_11target_archE1100ELNS1_3gpuE3ELNS1_3repE0EEENS1_30default_config_static_selectorELNS0_4arch9wavefront6targetE0EEEvSM_.num_named_barrier, 0
	.set _ZN7rocprim17ROCPRIM_400000_NS6detail17trampoline_kernelINS0_14default_configENS1_22reduce_config_selectorIfEEZNS1_11reduce_implILb1ES3_N6thrust23THRUST_200600_302600_NS11hip_rocprim26transform_input_iterator_tIfNS8_17counting_iteratorIiNS8_11use_defaultESC_SC_EE11estimate_piEEPffNS8_4plusIfEEEE10hipError_tPvRmT1_T2_T3_mT4_P12ihipStream_tbEUlT_E1_NS1_11comp_targetILNS1_3genE9ELNS1_11target_archE1100ELNS1_3gpuE3ELNS1_3repE0EEENS1_30default_config_static_selectorELNS0_4arch9wavefront6targetE0EEEvSM_.private_seg_size, 0
	.set _ZN7rocprim17ROCPRIM_400000_NS6detail17trampoline_kernelINS0_14default_configENS1_22reduce_config_selectorIfEEZNS1_11reduce_implILb1ES3_N6thrust23THRUST_200600_302600_NS11hip_rocprim26transform_input_iterator_tIfNS8_17counting_iteratorIiNS8_11use_defaultESC_SC_EE11estimate_piEEPffNS8_4plusIfEEEE10hipError_tPvRmT1_T2_T3_mT4_P12ihipStream_tbEUlT_E1_NS1_11comp_targetILNS1_3genE9ELNS1_11target_archE1100ELNS1_3gpuE3ELNS1_3repE0EEENS1_30default_config_static_selectorELNS0_4arch9wavefront6targetE0EEEvSM_.uses_vcc, 0
	.set _ZN7rocprim17ROCPRIM_400000_NS6detail17trampoline_kernelINS0_14default_configENS1_22reduce_config_selectorIfEEZNS1_11reduce_implILb1ES3_N6thrust23THRUST_200600_302600_NS11hip_rocprim26transform_input_iterator_tIfNS8_17counting_iteratorIiNS8_11use_defaultESC_SC_EE11estimate_piEEPffNS8_4plusIfEEEE10hipError_tPvRmT1_T2_T3_mT4_P12ihipStream_tbEUlT_E1_NS1_11comp_targetILNS1_3genE9ELNS1_11target_archE1100ELNS1_3gpuE3ELNS1_3repE0EEENS1_30default_config_static_selectorELNS0_4arch9wavefront6targetE0EEEvSM_.uses_flat_scratch, 0
	.set _ZN7rocprim17ROCPRIM_400000_NS6detail17trampoline_kernelINS0_14default_configENS1_22reduce_config_selectorIfEEZNS1_11reduce_implILb1ES3_N6thrust23THRUST_200600_302600_NS11hip_rocprim26transform_input_iterator_tIfNS8_17counting_iteratorIiNS8_11use_defaultESC_SC_EE11estimate_piEEPffNS8_4plusIfEEEE10hipError_tPvRmT1_T2_T3_mT4_P12ihipStream_tbEUlT_E1_NS1_11comp_targetILNS1_3genE9ELNS1_11target_archE1100ELNS1_3gpuE3ELNS1_3repE0EEENS1_30default_config_static_selectorELNS0_4arch9wavefront6targetE0EEEvSM_.has_dyn_sized_stack, 0
	.set _ZN7rocprim17ROCPRIM_400000_NS6detail17trampoline_kernelINS0_14default_configENS1_22reduce_config_selectorIfEEZNS1_11reduce_implILb1ES3_N6thrust23THRUST_200600_302600_NS11hip_rocprim26transform_input_iterator_tIfNS8_17counting_iteratorIiNS8_11use_defaultESC_SC_EE11estimate_piEEPffNS8_4plusIfEEEE10hipError_tPvRmT1_T2_T3_mT4_P12ihipStream_tbEUlT_E1_NS1_11comp_targetILNS1_3genE9ELNS1_11target_archE1100ELNS1_3gpuE3ELNS1_3repE0EEENS1_30default_config_static_selectorELNS0_4arch9wavefront6targetE0EEEvSM_.has_recursion, 0
	.set _ZN7rocprim17ROCPRIM_400000_NS6detail17trampoline_kernelINS0_14default_configENS1_22reduce_config_selectorIfEEZNS1_11reduce_implILb1ES3_N6thrust23THRUST_200600_302600_NS11hip_rocprim26transform_input_iterator_tIfNS8_17counting_iteratorIiNS8_11use_defaultESC_SC_EE11estimate_piEEPffNS8_4plusIfEEEE10hipError_tPvRmT1_T2_T3_mT4_P12ihipStream_tbEUlT_E1_NS1_11comp_targetILNS1_3genE9ELNS1_11target_archE1100ELNS1_3gpuE3ELNS1_3repE0EEENS1_30default_config_static_selectorELNS0_4arch9wavefront6targetE0EEEvSM_.has_indirect_call, 0
	.section	.AMDGPU.csdata,"",@progbits
; Kernel info:
; codeLenInByte = 0
; TotalNumSgprs: 0
; NumVgprs: 0
; ScratchSize: 0
; MemoryBound: 0
; FloatMode: 240
; IeeeMode: 1
; LDSByteSize: 0 bytes/workgroup (compile time only)
; SGPRBlocks: 0
; VGPRBlocks: 0
; NumSGPRsForWavesPerEU: 1
; NumVGPRsForWavesPerEU: 1
; Occupancy: 16
; WaveLimiterHint : 0
; COMPUTE_PGM_RSRC2:SCRATCH_EN: 0
; COMPUTE_PGM_RSRC2:USER_SGPR: 6
; COMPUTE_PGM_RSRC2:TRAP_HANDLER: 0
; COMPUTE_PGM_RSRC2:TGID_X_EN: 1
; COMPUTE_PGM_RSRC2:TGID_Y_EN: 0
; COMPUTE_PGM_RSRC2:TGID_Z_EN: 0
; COMPUTE_PGM_RSRC2:TIDIG_COMP_CNT: 0
	.section	.text._ZN7rocprim17ROCPRIM_400000_NS6detail17trampoline_kernelINS0_14default_configENS1_22reduce_config_selectorIfEEZNS1_11reduce_implILb1ES3_N6thrust23THRUST_200600_302600_NS11hip_rocprim26transform_input_iterator_tIfNS8_17counting_iteratorIiNS8_11use_defaultESC_SC_EE11estimate_piEEPffNS8_4plusIfEEEE10hipError_tPvRmT1_T2_T3_mT4_P12ihipStream_tbEUlT_E1_NS1_11comp_targetILNS1_3genE8ELNS1_11target_archE1030ELNS1_3gpuE2ELNS1_3repE0EEENS1_30default_config_static_selectorELNS0_4arch9wavefront6targetE0EEEvSM_,"axG",@progbits,_ZN7rocprim17ROCPRIM_400000_NS6detail17trampoline_kernelINS0_14default_configENS1_22reduce_config_selectorIfEEZNS1_11reduce_implILb1ES3_N6thrust23THRUST_200600_302600_NS11hip_rocprim26transform_input_iterator_tIfNS8_17counting_iteratorIiNS8_11use_defaultESC_SC_EE11estimate_piEEPffNS8_4plusIfEEEE10hipError_tPvRmT1_T2_T3_mT4_P12ihipStream_tbEUlT_E1_NS1_11comp_targetILNS1_3genE8ELNS1_11target_archE1030ELNS1_3gpuE2ELNS1_3repE0EEENS1_30default_config_static_selectorELNS0_4arch9wavefront6targetE0EEEvSM_,comdat
	.protected	_ZN7rocprim17ROCPRIM_400000_NS6detail17trampoline_kernelINS0_14default_configENS1_22reduce_config_selectorIfEEZNS1_11reduce_implILb1ES3_N6thrust23THRUST_200600_302600_NS11hip_rocprim26transform_input_iterator_tIfNS8_17counting_iteratorIiNS8_11use_defaultESC_SC_EE11estimate_piEEPffNS8_4plusIfEEEE10hipError_tPvRmT1_T2_T3_mT4_P12ihipStream_tbEUlT_E1_NS1_11comp_targetILNS1_3genE8ELNS1_11target_archE1030ELNS1_3gpuE2ELNS1_3repE0EEENS1_30default_config_static_selectorELNS0_4arch9wavefront6targetE0EEEvSM_ ; -- Begin function _ZN7rocprim17ROCPRIM_400000_NS6detail17trampoline_kernelINS0_14default_configENS1_22reduce_config_selectorIfEEZNS1_11reduce_implILb1ES3_N6thrust23THRUST_200600_302600_NS11hip_rocprim26transform_input_iterator_tIfNS8_17counting_iteratorIiNS8_11use_defaultESC_SC_EE11estimate_piEEPffNS8_4plusIfEEEE10hipError_tPvRmT1_T2_T3_mT4_P12ihipStream_tbEUlT_E1_NS1_11comp_targetILNS1_3genE8ELNS1_11target_archE1030ELNS1_3gpuE2ELNS1_3repE0EEENS1_30default_config_static_selectorELNS0_4arch9wavefront6targetE0EEEvSM_
	.globl	_ZN7rocprim17ROCPRIM_400000_NS6detail17trampoline_kernelINS0_14default_configENS1_22reduce_config_selectorIfEEZNS1_11reduce_implILb1ES3_N6thrust23THRUST_200600_302600_NS11hip_rocprim26transform_input_iterator_tIfNS8_17counting_iteratorIiNS8_11use_defaultESC_SC_EE11estimate_piEEPffNS8_4plusIfEEEE10hipError_tPvRmT1_T2_T3_mT4_P12ihipStream_tbEUlT_E1_NS1_11comp_targetILNS1_3genE8ELNS1_11target_archE1030ELNS1_3gpuE2ELNS1_3repE0EEENS1_30default_config_static_selectorELNS0_4arch9wavefront6targetE0EEEvSM_
	.p2align	8
	.type	_ZN7rocprim17ROCPRIM_400000_NS6detail17trampoline_kernelINS0_14default_configENS1_22reduce_config_selectorIfEEZNS1_11reduce_implILb1ES3_N6thrust23THRUST_200600_302600_NS11hip_rocprim26transform_input_iterator_tIfNS8_17counting_iteratorIiNS8_11use_defaultESC_SC_EE11estimate_piEEPffNS8_4plusIfEEEE10hipError_tPvRmT1_T2_T3_mT4_P12ihipStream_tbEUlT_E1_NS1_11comp_targetILNS1_3genE8ELNS1_11target_archE1030ELNS1_3gpuE2ELNS1_3repE0EEENS1_30default_config_static_selectorELNS0_4arch9wavefront6targetE0EEEvSM_,@function
_ZN7rocprim17ROCPRIM_400000_NS6detail17trampoline_kernelINS0_14default_configENS1_22reduce_config_selectorIfEEZNS1_11reduce_implILb1ES3_N6thrust23THRUST_200600_302600_NS11hip_rocprim26transform_input_iterator_tIfNS8_17counting_iteratorIiNS8_11use_defaultESC_SC_EE11estimate_piEEPffNS8_4plusIfEEEE10hipError_tPvRmT1_T2_T3_mT4_P12ihipStream_tbEUlT_E1_NS1_11comp_targetILNS1_3genE8ELNS1_11target_archE1030ELNS1_3gpuE2ELNS1_3repE0EEENS1_30default_config_static_selectorELNS0_4arch9wavefront6targetE0EEEvSM_: ; @_ZN7rocprim17ROCPRIM_400000_NS6detail17trampoline_kernelINS0_14default_configENS1_22reduce_config_selectorIfEEZNS1_11reduce_implILb1ES3_N6thrust23THRUST_200600_302600_NS11hip_rocprim26transform_input_iterator_tIfNS8_17counting_iteratorIiNS8_11use_defaultESC_SC_EE11estimate_piEEPffNS8_4plusIfEEEE10hipError_tPvRmT1_T2_T3_mT4_P12ihipStream_tbEUlT_E1_NS1_11comp_targetILNS1_3genE8ELNS1_11target_archE1030ELNS1_3gpuE2ELNS1_3repE0EEENS1_30default_config_static_selectorELNS0_4arch9wavefront6targetE0EEEvSM_
; %bb.0:
	s_clause 0x1
	s_load_dwordx2 s[38:39], s[4:5], 0x4
	s_load_dwordx4 s[40:43], s[4:5], 0x10
	s_waitcnt lgkmcnt(0)
	s_cmp_lt_i32 s38, 8
	s_cbranch_scc1 .LBB35_75
; %bb.1:
	s_cmp_gt_i32 s38, 15
	s_cbranch_scc0 .LBB35_76
; %bb.2:
	s_cmp_gt_i32 s38, 31
	s_cbranch_scc0 .LBB35_77
; %bb.3:
	s_cmp_eq_u32 s38, 32
	s_mov_b32 s44, 0
	s_cbranch_scc0 .LBB35_78
; %bb.4:
	s_lshl_b32 s8, s6, 13
	s_mov_b32 s7, 0
	s_lshr_b64 s[0:1], s[40:41], 13
	s_add_i32 s37, s39, s8
	s_cmp_lg_u64 s[0:1], s[6:7]
	s_cbranch_scc0 .LBB35_119
; %bb.5:
	v_add_nc_u32_e32 v2, s37, v0
	s_movk_i32 s2, 0x2710
	v_lshlrev_b32_e32 v1, 12, v2
	v_add3_u32 v1, v2, v1, 0x7ed55d16
	v_lshrrev_b32_e32 v3, 19, v1
	v_xor3_b32 v1, v1, v3, 0xc761c23c
	v_lshl_add_u32 v1, v1, 5, v1
	v_add_nc_u32_e32 v3, 0xe9f8cc1d, v1
	v_lshl_add_u32 v1, v1, 9, 0xaccf6200
	v_xor_b32_e32 v1, v3, v1
	v_lshlrev_b32_e32 v3, 3, v1
	v_add3_u32 v1, v1, v3, 0xfd7046c5
	v_lshrrev_b32_e32 v3, 16, v1
	v_xor3_b32 v1, v1, v3, 0xb55a4f09
	v_mul_hi_u32 v3, v1, 3
	v_sub_nc_u32_e32 v4, v1, v3
	v_lshrrev_b32_e32 v4, 1, v4
	v_add_nc_u32_e32 v3, v4, v3
	v_lshrrev_b32_e32 v3, 30, v3
	v_mul_lo_u32 v3, 0x7fffffff, v3
	v_sub_nc_u32_e32 v1, v1, v3
	v_max_u32_e32 v3, 1, v1
	v_mov_b32_e32 v1, 0
.LBB35_6:                               ; =>This Inner Loop Header: Depth=1
	v_mul_hi_u32 v4, 0xbc8f1391, v3
	s_add_i32 s2, s2, -2
	s_cmp_lg_u32 s2, 0
	v_lshrrev_b32_e32 v4, 15, v4
	v_mul_u32_u24_e32 v5, 0xadc8, v4
	v_mul_u32_u24_e32 v4, 0xd47, v4
	v_sub_nc_u32_e32 v3, v3, v5
	v_xor_b32_e32 v5, 0x7fffffff, v4
	v_sub_nc_u32_e32 v6, 0, v4
	v_mul_lo_u32 v3, 0xbc8f, v3
	v_cmp_lt_u32_e32 vcc_lo, v3, v4
	v_cndmask_b32_e32 v4, v6, v5, vcc_lo
	v_add_nc_u32_e32 v3, v4, v3
	v_mul_hi_u32 v4, 0xbc8f1391, v3
	v_lshrrev_b32_e32 v4, 15, v4
	v_mul_u32_u24_e32 v5, 0xadc8, v4
	v_mul_u32_u24_e32 v4, 0xd47, v4
	v_sub_nc_u32_e32 v5, v3, v5
	v_xor_b32_e32 v6, 0x7fffffff, v4
	v_sub_nc_u32_e32 v7, 0, v4
	v_add_nc_u32_e32 v3, -1, v3
	v_mul_lo_u32 v5, 0xbc8f, v5
	v_cvt_f32_u32_e32 v3, v3
	v_cmp_lt_u32_e32 vcc_lo, v5, v4
	v_cndmask_b32_e32 v4, v7, v6, vcc_lo
	v_add_nc_u32_e32 v4, v4, v5
	v_mul_hi_u32 v5, 0xbc8f1391, v4
	v_lshrrev_b32_e32 v5, 15, v5
	v_mul_u32_u24_e32 v6, 0xadc8, v5
	v_mul_u32_u24_e32 v5, 0xd47, v5
	v_sub_nc_u32_e32 v6, v4, v6
	v_xor_b32_e32 v7, 0x7fffffff, v5
	v_sub_nc_u32_e32 v8, 0, v5
	v_add_nc_u32_e32 v4, -1, v4
	v_mul_lo_u32 v6, 0xbc8f, v6
	v_cvt_f32_u32_e32 v4, v4
	v_fma_f32 v4, 0x30000000, v4, 0
	v_cmp_lt_u32_e32 vcc_lo, v6, v5
	v_mul_f32_e32 v4, v4, v4
	v_cndmask_b32_e32 v5, v8, v7, vcc_lo
	v_fma_f32 v7, 0x30000000, v3, 0
	v_add_nc_u32_e32 v5, v5, v6
	v_fmac_f32_e32 v4, v7, v7
	v_mul_hi_u32 v6, 0xbc8f1391, v5
	v_mul_f32_e32 v7, 0x4f800000, v4
	v_lshrrev_b32_e32 v3, 15, v6
	v_mul_u32_u24_e32 v6, 0xadc8, v3
	v_mul_u32_u24_e32 v3, 0xd47, v3
	v_sub_nc_u32_e32 v6, v5, v6
	v_xor_b32_e32 v8, 0x7fffffff, v3
	v_sub_nc_u32_e32 v9, 0, v3
	v_add_nc_u32_e32 v5, -1, v5
	v_mul_lo_u32 v6, 0xbc8f, v6
	v_cvt_f32_u32_e32 v5, v5
	v_fma_f32 v5, 0x30000000, v5, 0
	v_cmp_lt_u32_e32 vcc_lo, v6, v3
	v_cndmask_b32_e32 v3, v9, v8, vcc_lo
	v_cmp_gt_f32_e32 vcc_lo, 0xf800000, v4
	v_add_f32_e32 v8, 1.0, v1
	v_add_nc_u32_e32 v3, v3, v6
	v_cndmask_b32_e32 v4, v4, v7, vcc_lo
	v_add_nc_u32_e32 v6, -1, v3
	v_cvt_f32_u32_e32 v6, v6
	v_fma_f32 v6, 0x30000000, v6, 0
	v_mul_f32_e32 v6, v6, v6
	v_fmac_f32_e32 v6, v5, v5
	v_sqrt_f32_e32 v5, v4
	v_mul_f32_e32 v7, 0x4f800000, v6
	v_cmp_gt_f32_e64 s0, 0xf800000, v6
	v_cndmask_b32_e64 v6, v6, v7, s0
	v_add_nc_u32_e32 v7, -1, v5
	v_add_nc_u32_e32 v9, 1, v5
	v_sqrt_f32_e32 v10, v6
	v_fma_f32 v11, -v7, v5, v4
	v_fma_f32 v12, -v9, v5, v4
	v_cmp_ge_f32_e64 s1, 0, v11
	v_cndmask_b32_e64 v5, v5, v7, s1
	v_cmp_lt_f32_e64 s1, 0, v12
	v_add_nc_u32_e32 v7, -1, v10
	v_cndmask_b32_e64 v5, v5, v9, s1
	v_add_nc_u32_e32 v9, 1, v10
	v_fma_f32 v11, -v7, v10, v6
	v_mul_f32_e32 v12, 0x37800000, v5
	v_fma_f32 v13, -v9, v10, v6
	v_cmp_ge_f32_e64 s1, 0, v11
	v_cndmask_b32_e32 v5, v5, v12, vcc_lo
	v_cmp_class_f32_e64 vcc_lo, v4, 0x260
	v_cndmask_b32_e64 v7, v10, v7, s1
	v_cmp_lt_f32_e64 s1, 0, v13
	v_cndmask_b32_e32 v4, v5, v4, vcc_lo
	v_cndmask_b32_e64 v7, v7, v9, s1
	v_cmp_nge_f32_e32 vcc_lo, 1.0, v4
	v_mul_f32_e32 v5, 0x37800000, v7
	v_cndmask_b32_e32 v1, v8, v1, vcc_lo
	v_cmp_class_f32_e64 vcc_lo, v6, 0x260
	v_cndmask_b32_e64 v4, v7, v5, s0
	v_add_f32_e32 v5, 1.0, v1
	v_cndmask_b32_e32 v4, v4, v6, vcc_lo
	v_cmp_nge_f32_e32 vcc_lo, 1.0, v4
	v_cndmask_b32_e32 v1, v5, v1, vcc_lo
	s_cbranch_scc1 .LBB35_6
; %bb.7:
	v_lshl_add_u32 v6, v2, 12, v2
	s_movk_i32 s2, 0x2710
	v_add_nc_u32_e32 v2, 0x7ee55e16, v6
	v_lshrrev_b32_e32 v3, 19, v2
	v_xor3_b32 v2, v2, v3, 0xc761c23c
	v_lshl_add_u32 v2, v2, 5, v2
	v_add_nc_u32_e32 v3, 0xe9f8cc1d, v2
	v_lshl_add_u32 v2, v2, 9, 0xaccf6200
	v_xor_b32_e32 v2, v3, v2
	v_lshlrev_b32_e32 v3, 3, v2
	v_add3_u32 v2, v2, v3, 0xfd7046c5
	v_lshrrev_b32_e32 v3, 16, v2
	v_xor3_b32 v2, v2, v3, 0xb55a4f09
	v_mul_hi_u32 v3, v2, 3
	v_sub_nc_u32_e32 v4, v2, v3
	v_lshrrev_b32_e32 v4, 1, v4
	v_add_nc_u32_e32 v3, v4, v3
	v_lshrrev_b32_e32 v3, 30, v3
	v_mul_lo_u32 v3, 0x7fffffff, v3
	v_sub_nc_u32_e32 v2, v2, v3
	v_max_u32_e32 v3, 1, v2
	v_mov_b32_e32 v2, 0
.LBB35_8:                               ; =>This Inner Loop Header: Depth=1
	v_mul_hi_u32 v4, 0xbc8f1391, v3
	s_add_i32 s2, s2, -2
	s_cmp_lg_u32 s2, 0
	v_lshrrev_b32_e32 v4, 15, v4
	v_mul_u32_u24_e32 v5, 0xadc8, v4
	v_mul_u32_u24_e32 v4, 0xd47, v4
	v_sub_nc_u32_e32 v3, v3, v5
	v_xor_b32_e32 v5, 0x7fffffff, v4
	v_sub_nc_u32_e32 v7, 0, v4
	v_mul_lo_u32 v3, 0xbc8f, v3
	v_cmp_lt_u32_e32 vcc_lo, v3, v4
	v_cndmask_b32_e32 v4, v7, v5, vcc_lo
	v_add_nc_u32_e32 v3, v4, v3
	v_mul_hi_u32 v4, 0xbc8f1391, v3
	v_lshrrev_b32_e32 v4, 15, v4
	v_mul_u32_u24_e32 v5, 0xadc8, v4
	v_mul_u32_u24_e32 v4, 0xd47, v4
	v_sub_nc_u32_e32 v5, v3, v5
	v_xor_b32_e32 v7, 0x7fffffff, v4
	v_sub_nc_u32_e32 v8, 0, v4
	v_add_nc_u32_e32 v3, -1, v3
	v_mul_lo_u32 v5, 0xbc8f, v5
	v_cvt_f32_u32_e32 v3, v3
	v_cmp_lt_u32_e32 vcc_lo, v5, v4
	v_cndmask_b32_e32 v4, v8, v7, vcc_lo
	v_add_nc_u32_e32 v4, v4, v5
	v_mul_hi_u32 v5, 0xbc8f1391, v4
	v_lshrrev_b32_e32 v5, 15, v5
	v_mul_u32_u24_e32 v7, 0xadc8, v5
	v_mul_u32_u24_e32 v5, 0xd47, v5
	v_sub_nc_u32_e32 v7, v4, v7
	v_xor_b32_e32 v8, 0x7fffffff, v5
	v_sub_nc_u32_e32 v9, 0, v5
	v_add_nc_u32_e32 v4, -1, v4
	v_mul_lo_u32 v7, 0xbc8f, v7
	v_cvt_f32_u32_e32 v4, v4
	v_fma_f32 v4, 0x30000000, v4, 0
	v_cmp_lt_u32_e32 vcc_lo, v7, v5
	v_mul_f32_e32 v4, v4, v4
	v_cndmask_b32_e32 v5, v9, v8, vcc_lo
	v_fma_f32 v8, 0x30000000, v3, 0
	v_add_nc_u32_e32 v5, v5, v7
	v_fmac_f32_e32 v4, v8, v8
	v_mul_hi_u32 v7, 0xbc8f1391, v5
	v_mul_f32_e32 v8, 0x4f800000, v4
	v_lshrrev_b32_e32 v3, 15, v7
	v_mul_u32_u24_e32 v7, 0xadc8, v3
	v_mul_u32_u24_e32 v3, 0xd47, v3
	v_sub_nc_u32_e32 v7, v5, v7
	v_xor_b32_e32 v9, 0x7fffffff, v3
	v_sub_nc_u32_e32 v10, 0, v3
	v_add_nc_u32_e32 v5, -1, v5
	v_mul_lo_u32 v7, 0xbc8f, v7
	v_cvt_f32_u32_e32 v5, v5
	v_fma_f32 v5, 0x30000000, v5, 0
	v_cmp_lt_u32_e32 vcc_lo, v7, v3
	v_cndmask_b32_e32 v3, v10, v9, vcc_lo
	v_cmp_gt_f32_e32 vcc_lo, 0xf800000, v4
	v_add_f32_e32 v9, 1.0, v2
	v_add_nc_u32_e32 v3, v3, v7
	v_cndmask_b32_e32 v4, v4, v8, vcc_lo
	v_add_nc_u32_e32 v7, -1, v3
	v_cvt_f32_u32_e32 v7, v7
	v_fma_f32 v7, 0x30000000, v7, 0
	v_mul_f32_e32 v7, v7, v7
	v_fmac_f32_e32 v7, v5, v5
	v_sqrt_f32_e32 v5, v4
	v_mul_f32_e32 v8, 0x4f800000, v7
	v_cmp_gt_f32_e64 s0, 0xf800000, v7
	v_cndmask_b32_e64 v7, v7, v8, s0
	v_add_nc_u32_e32 v8, -1, v5
	v_add_nc_u32_e32 v10, 1, v5
	v_sqrt_f32_e32 v11, v7
	v_fma_f32 v12, -v8, v5, v4
	v_fma_f32 v13, -v10, v5, v4
	v_cmp_ge_f32_e64 s1, 0, v12
	v_cndmask_b32_e64 v5, v5, v8, s1
	v_cmp_lt_f32_e64 s1, 0, v13
	v_add_nc_u32_e32 v8, -1, v11
	v_cndmask_b32_e64 v5, v5, v10, s1
	v_add_nc_u32_e32 v10, 1, v11
	v_fma_f32 v12, -v8, v11, v7
	v_mul_f32_e32 v13, 0x37800000, v5
	v_fma_f32 v14, -v10, v11, v7
	v_cmp_ge_f32_e64 s1, 0, v12
	v_cndmask_b32_e32 v5, v5, v13, vcc_lo
	v_cmp_class_f32_e64 vcc_lo, v4, 0x260
	v_cndmask_b32_e64 v8, v11, v8, s1
	v_cmp_lt_f32_e64 s1, 0, v14
	v_cndmask_b32_e32 v4, v5, v4, vcc_lo
	v_cndmask_b32_e64 v8, v8, v10, s1
	v_cmp_nge_f32_e32 vcc_lo, 1.0, v4
	v_mul_f32_e32 v5, 0x37800000, v8
	v_cndmask_b32_e32 v2, v9, v2, vcc_lo
	v_cmp_class_f32_e64 vcc_lo, v7, 0x260
	v_cndmask_b32_e64 v4, v8, v5, s0
	v_add_f32_e32 v5, 1.0, v2
	v_cndmask_b32_e32 v4, v4, v7, vcc_lo
	v_cmp_nge_f32_e32 vcc_lo, 1.0, v4
	v_cndmask_b32_e32 v2, v5, v2, vcc_lo
	s_cbranch_scc1 .LBB35_8
; %bb.9:
	v_add_nc_u32_e32 v3, 0x7ef55f16, v6
	s_movk_i32 s2, 0x2710
	v_lshrrev_b32_e32 v4, 19, v3
	v_xor3_b32 v3, v3, v4, 0xc761c23c
	v_lshl_add_u32 v3, v3, 5, v3
	v_add_nc_u32_e32 v4, 0xe9f8cc1d, v3
	v_lshl_add_u32 v3, v3, 9, 0xaccf6200
	v_xor_b32_e32 v3, v4, v3
	v_lshlrev_b32_e32 v4, 3, v3
	v_add3_u32 v3, v3, v4, 0xfd7046c5
	v_lshrrev_b32_e32 v4, 16, v3
	v_xor3_b32 v3, v3, v4, 0xb55a4f09
	v_mul_hi_u32 v4, v3, 3
	v_sub_nc_u32_e32 v5, v3, v4
	v_lshrrev_b32_e32 v5, 1, v5
	v_add_nc_u32_e32 v4, v5, v4
	v_lshrrev_b32_e32 v4, 30, v4
	v_mul_lo_u32 v4, 0x7fffffff, v4
	v_sub_nc_u32_e32 v3, v3, v4
	v_max_u32_e32 v4, 1, v3
	v_mov_b32_e32 v3, 0
.LBB35_10:                              ; =>This Inner Loop Header: Depth=1
	v_mul_hi_u32 v5, 0xbc8f1391, v4
	s_add_i32 s2, s2, -2
	s_cmp_lg_u32 s2, 0
	v_lshrrev_b32_e32 v5, 15, v5
	v_mul_u32_u24_e32 v7, 0xadc8, v5
	v_mul_u32_u24_e32 v5, 0xd47, v5
	v_sub_nc_u32_e32 v4, v4, v7
	v_xor_b32_e32 v7, 0x7fffffff, v5
	v_sub_nc_u32_e32 v8, 0, v5
	v_mul_lo_u32 v4, 0xbc8f, v4
	v_cmp_lt_u32_e32 vcc_lo, v4, v5
	v_cndmask_b32_e32 v5, v8, v7, vcc_lo
	v_add_nc_u32_e32 v4, v5, v4
	v_mul_hi_u32 v5, 0xbc8f1391, v4
	v_lshrrev_b32_e32 v5, 15, v5
	v_mul_u32_u24_e32 v7, 0xadc8, v5
	v_mul_u32_u24_e32 v5, 0xd47, v5
	v_sub_nc_u32_e32 v7, v4, v7
	v_xor_b32_e32 v8, 0x7fffffff, v5
	v_sub_nc_u32_e32 v9, 0, v5
	v_add_nc_u32_e32 v4, -1, v4
	v_mul_lo_u32 v7, 0xbc8f, v7
	v_cvt_f32_u32_e32 v4, v4
	v_cmp_lt_u32_e32 vcc_lo, v7, v5
	v_cndmask_b32_e32 v5, v9, v8, vcc_lo
	v_add_nc_u32_e32 v5, v5, v7
	v_mul_hi_u32 v7, 0xbc8f1391, v5
	v_lshrrev_b32_e32 v7, 15, v7
	v_mul_u32_u24_e32 v8, 0xadc8, v7
	v_mul_u32_u24_e32 v7, 0xd47, v7
	v_sub_nc_u32_e32 v8, v5, v8
	v_xor_b32_e32 v9, 0x7fffffff, v7
	v_sub_nc_u32_e32 v10, 0, v7
	v_add_nc_u32_e32 v5, -1, v5
	v_mul_lo_u32 v8, 0xbc8f, v8
	v_cvt_f32_u32_e32 v5, v5
	v_fma_f32 v5, 0x30000000, v5, 0
	v_cmp_lt_u32_e32 vcc_lo, v8, v7
	v_mul_f32_e32 v5, v5, v5
	v_cndmask_b32_e32 v7, v10, v9, vcc_lo
	v_fma_f32 v9, 0x30000000, v4, 0
	v_add_nc_u32_e32 v7, v7, v8
	v_fmac_f32_e32 v5, v9, v9
	v_mul_hi_u32 v8, 0xbc8f1391, v7
	v_mul_f32_e32 v9, 0x4f800000, v5
	v_lshrrev_b32_e32 v4, 15, v8
	v_mul_u32_u24_e32 v8, 0xadc8, v4
	v_mul_u32_u24_e32 v4, 0xd47, v4
	v_sub_nc_u32_e32 v8, v7, v8
	v_xor_b32_e32 v10, 0x7fffffff, v4
	v_sub_nc_u32_e32 v11, 0, v4
	v_add_nc_u32_e32 v7, -1, v7
	v_mul_lo_u32 v8, 0xbc8f, v8
	v_cvt_f32_u32_e32 v7, v7
	v_fma_f32 v7, 0x30000000, v7, 0
	v_cmp_lt_u32_e32 vcc_lo, v8, v4
	v_cndmask_b32_e32 v4, v11, v10, vcc_lo
	v_cmp_gt_f32_e32 vcc_lo, 0xf800000, v5
	v_add_f32_e32 v10, 1.0, v3
	v_add_nc_u32_e32 v4, v4, v8
	v_cndmask_b32_e32 v5, v5, v9, vcc_lo
	v_add_nc_u32_e32 v8, -1, v4
	v_cvt_f32_u32_e32 v8, v8
	v_fma_f32 v8, 0x30000000, v8, 0
	v_mul_f32_e32 v8, v8, v8
	v_fmac_f32_e32 v8, v7, v7
	v_sqrt_f32_e32 v7, v5
	v_mul_f32_e32 v9, 0x4f800000, v8
	v_cmp_gt_f32_e64 s0, 0xf800000, v8
	v_cndmask_b32_e64 v8, v8, v9, s0
	v_add_nc_u32_e32 v9, -1, v7
	v_add_nc_u32_e32 v11, 1, v7
	v_sqrt_f32_e32 v12, v8
	v_fma_f32 v13, -v9, v7, v5
	v_fma_f32 v14, -v11, v7, v5
	v_cmp_ge_f32_e64 s1, 0, v13
	v_cndmask_b32_e64 v7, v7, v9, s1
	v_cmp_lt_f32_e64 s1, 0, v14
	v_add_nc_u32_e32 v9, -1, v12
	v_cndmask_b32_e64 v7, v7, v11, s1
	v_add_nc_u32_e32 v11, 1, v12
	v_fma_f32 v13, -v9, v12, v8
	v_mul_f32_e32 v14, 0x37800000, v7
	v_fma_f32 v15, -v11, v12, v8
	v_cmp_ge_f32_e64 s1, 0, v13
	v_cndmask_b32_e32 v7, v7, v14, vcc_lo
	v_cmp_class_f32_e64 vcc_lo, v5, 0x260
	v_cndmask_b32_e64 v9, v12, v9, s1
	v_cmp_lt_f32_e64 s1, 0, v15
	v_cndmask_b32_e32 v5, v7, v5, vcc_lo
	v_cndmask_b32_e64 v9, v9, v11, s1
	v_cmp_nge_f32_e32 vcc_lo, 1.0, v5
	v_mul_f32_e32 v7, 0x37800000, v9
	v_cndmask_b32_e32 v3, v10, v3, vcc_lo
	v_cmp_class_f32_e64 vcc_lo, v8, 0x260
	v_cndmask_b32_e64 v5, v9, v7, s0
	v_add_f32_e32 v7, 1.0, v3
	v_cndmask_b32_e32 v5, v5, v8, vcc_lo
	v_cmp_nge_f32_e32 vcc_lo, 1.0, v5
	v_cndmask_b32_e32 v3, v7, v3, vcc_lo
	s_cbranch_scc1 .LBB35_10
; %bb.11:
	v_add_nc_u32_e32 v4, 0x7f056016, v6
	s_movk_i32 s2, 0x2710
	v_lshrrev_b32_e32 v5, 19, v4
	v_xor3_b32 v4, v4, v5, 0xc761c23c
	v_lshl_add_u32 v4, v4, 5, v4
	v_add_nc_u32_e32 v5, 0xe9f8cc1d, v4
	v_lshl_add_u32 v4, v4, 9, 0xaccf6200
	v_xor_b32_e32 v4, v5, v4
	v_lshlrev_b32_e32 v5, 3, v4
	v_add3_u32 v4, v4, v5, 0xfd7046c5
	v_lshrrev_b32_e32 v5, 16, v4
	v_xor3_b32 v4, v4, v5, 0xb55a4f09
	v_mul_hi_u32 v5, v4, 3
	v_sub_nc_u32_e32 v7, v4, v5
	v_lshrrev_b32_e32 v7, 1, v7
	v_add_nc_u32_e32 v5, v7, v5
	v_lshrrev_b32_e32 v5, 30, v5
	v_mul_lo_u32 v5, 0x7fffffff, v5
	v_sub_nc_u32_e32 v4, v4, v5
	v_max_u32_e32 v5, 1, v4
	v_mov_b32_e32 v4, 0
.LBB35_12:                              ; =>This Inner Loop Header: Depth=1
	v_mul_hi_u32 v7, 0xbc8f1391, v5
	s_add_i32 s2, s2, -2
	s_cmp_lg_u32 s2, 0
	v_lshrrev_b32_e32 v7, 15, v7
	v_mul_u32_u24_e32 v8, 0xadc8, v7
	v_mul_u32_u24_e32 v7, 0xd47, v7
	v_sub_nc_u32_e32 v5, v5, v8
	v_xor_b32_e32 v8, 0x7fffffff, v7
	v_sub_nc_u32_e32 v9, 0, v7
	v_mul_lo_u32 v5, 0xbc8f, v5
	v_cmp_lt_u32_e32 vcc_lo, v5, v7
	v_cndmask_b32_e32 v7, v9, v8, vcc_lo
	v_add_nc_u32_e32 v5, v7, v5
	v_mul_hi_u32 v7, 0xbc8f1391, v5
	v_lshrrev_b32_e32 v7, 15, v7
	v_mul_u32_u24_e32 v8, 0xadc8, v7
	v_mul_u32_u24_e32 v7, 0xd47, v7
	v_sub_nc_u32_e32 v8, v5, v8
	v_xor_b32_e32 v9, 0x7fffffff, v7
	v_sub_nc_u32_e32 v10, 0, v7
	v_add_nc_u32_e32 v5, -1, v5
	v_mul_lo_u32 v8, 0xbc8f, v8
	v_cvt_f32_u32_e32 v5, v5
	v_cmp_lt_u32_e32 vcc_lo, v8, v7
	v_cndmask_b32_e32 v7, v10, v9, vcc_lo
	v_add_nc_u32_e32 v7, v7, v8
	v_mul_hi_u32 v8, 0xbc8f1391, v7
	v_lshrrev_b32_e32 v8, 15, v8
	v_mul_u32_u24_e32 v9, 0xadc8, v8
	v_mul_u32_u24_e32 v8, 0xd47, v8
	v_sub_nc_u32_e32 v9, v7, v9
	v_xor_b32_e32 v10, 0x7fffffff, v8
	v_sub_nc_u32_e32 v11, 0, v8
	v_add_nc_u32_e32 v7, -1, v7
	v_mul_lo_u32 v9, 0xbc8f, v9
	v_cvt_f32_u32_e32 v7, v7
	v_fma_f32 v7, 0x30000000, v7, 0
	v_cmp_lt_u32_e32 vcc_lo, v9, v8
	v_mul_f32_e32 v7, v7, v7
	v_cndmask_b32_e32 v8, v11, v10, vcc_lo
	v_fma_f32 v10, 0x30000000, v5, 0
	v_add_nc_u32_e32 v8, v8, v9
	v_fmac_f32_e32 v7, v10, v10
	v_mul_hi_u32 v9, 0xbc8f1391, v8
	v_mul_f32_e32 v10, 0x4f800000, v7
	v_lshrrev_b32_e32 v5, 15, v9
	v_mul_u32_u24_e32 v9, 0xadc8, v5
	v_mul_u32_u24_e32 v5, 0xd47, v5
	v_sub_nc_u32_e32 v9, v8, v9
	v_xor_b32_e32 v11, 0x7fffffff, v5
	v_sub_nc_u32_e32 v12, 0, v5
	v_add_nc_u32_e32 v8, -1, v8
	v_mul_lo_u32 v9, 0xbc8f, v9
	v_cvt_f32_u32_e32 v8, v8
	v_fma_f32 v8, 0x30000000, v8, 0
	v_cmp_lt_u32_e32 vcc_lo, v9, v5
	v_cndmask_b32_e32 v5, v12, v11, vcc_lo
	v_cmp_gt_f32_e32 vcc_lo, 0xf800000, v7
	v_add_f32_e32 v11, 1.0, v4
	v_add_nc_u32_e32 v5, v5, v9
	v_cndmask_b32_e32 v7, v7, v10, vcc_lo
	v_add_nc_u32_e32 v9, -1, v5
	v_cvt_f32_u32_e32 v9, v9
	v_fma_f32 v9, 0x30000000, v9, 0
	v_mul_f32_e32 v9, v9, v9
	v_fmac_f32_e32 v9, v8, v8
	v_sqrt_f32_e32 v8, v7
	v_mul_f32_e32 v10, 0x4f800000, v9
	v_cmp_gt_f32_e64 s0, 0xf800000, v9
	v_cndmask_b32_e64 v9, v9, v10, s0
	v_add_nc_u32_e32 v10, -1, v8
	v_add_nc_u32_e32 v12, 1, v8
	v_sqrt_f32_e32 v13, v9
	v_fma_f32 v14, -v10, v8, v7
	v_fma_f32 v15, -v12, v8, v7
	v_cmp_ge_f32_e64 s1, 0, v14
	v_cndmask_b32_e64 v8, v8, v10, s1
	v_cmp_lt_f32_e64 s1, 0, v15
	v_add_nc_u32_e32 v10, -1, v13
	v_cndmask_b32_e64 v8, v8, v12, s1
	v_add_nc_u32_e32 v12, 1, v13
	v_fma_f32 v14, -v10, v13, v9
	v_mul_f32_e32 v15, 0x37800000, v8
	v_fma_f32 v16, -v12, v13, v9
	v_cmp_ge_f32_e64 s1, 0, v14
	v_cndmask_b32_e32 v8, v8, v15, vcc_lo
	v_cmp_class_f32_e64 vcc_lo, v7, 0x260
	v_cndmask_b32_e64 v10, v13, v10, s1
	v_cmp_lt_f32_e64 s1, 0, v16
	v_cndmask_b32_e32 v7, v8, v7, vcc_lo
	v_cndmask_b32_e64 v10, v10, v12, s1
	v_cmp_nge_f32_e32 vcc_lo, 1.0, v7
	v_mul_f32_e32 v8, 0x37800000, v10
	v_cndmask_b32_e32 v4, v11, v4, vcc_lo
	v_cmp_class_f32_e64 vcc_lo, v9, 0x260
	v_cndmask_b32_e64 v7, v10, v8, s0
	v_add_f32_e32 v8, 1.0, v4
	v_cndmask_b32_e32 v7, v7, v9, vcc_lo
	v_cmp_nge_f32_e32 vcc_lo, 1.0, v7
	v_cndmask_b32_e32 v4, v8, v4, vcc_lo
	s_cbranch_scc1 .LBB35_12
; %bb.13:
	v_add_nc_u32_e32 v5, 0x7f156116, v6
	s_movk_i32 s2, 0x2710
	v_lshrrev_b32_e32 v7, 19, v5
	v_xor3_b32 v5, v5, v7, 0xc761c23c
	v_lshl_add_u32 v5, v5, 5, v5
	v_add_nc_u32_e32 v7, 0xe9f8cc1d, v5
	v_lshl_add_u32 v5, v5, 9, 0xaccf6200
	v_xor_b32_e32 v5, v7, v5
	v_lshlrev_b32_e32 v7, 3, v5
	v_add3_u32 v5, v5, v7, 0xfd7046c5
	v_lshrrev_b32_e32 v7, 16, v5
	v_xor3_b32 v5, v5, v7, 0xb55a4f09
	v_mul_hi_u32 v7, v5, 3
	v_sub_nc_u32_e32 v8, v5, v7
	v_lshrrev_b32_e32 v8, 1, v8
	v_add_nc_u32_e32 v7, v8, v7
	v_lshrrev_b32_e32 v7, 30, v7
	v_mul_lo_u32 v7, 0x7fffffff, v7
	v_sub_nc_u32_e32 v5, v5, v7
	v_max_u32_e32 v7, 1, v5
	v_mov_b32_e32 v5, 0
.LBB35_14:                              ; =>This Inner Loop Header: Depth=1
	v_mul_hi_u32 v8, 0xbc8f1391, v7
	s_add_i32 s2, s2, -2
	s_cmp_lg_u32 s2, 0
	v_lshrrev_b32_e32 v8, 15, v8
	v_mul_u32_u24_e32 v9, 0xadc8, v8
	v_mul_u32_u24_e32 v8, 0xd47, v8
	v_sub_nc_u32_e32 v7, v7, v9
	v_xor_b32_e32 v9, 0x7fffffff, v8
	v_sub_nc_u32_e32 v10, 0, v8
	v_mul_lo_u32 v7, 0xbc8f, v7
	v_cmp_lt_u32_e32 vcc_lo, v7, v8
	v_cndmask_b32_e32 v8, v10, v9, vcc_lo
	v_add_nc_u32_e32 v7, v8, v7
	v_mul_hi_u32 v8, 0xbc8f1391, v7
	v_lshrrev_b32_e32 v8, 15, v8
	v_mul_u32_u24_e32 v9, 0xadc8, v8
	v_mul_u32_u24_e32 v8, 0xd47, v8
	v_sub_nc_u32_e32 v9, v7, v9
	v_xor_b32_e32 v10, 0x7fffffff, v8
	v_sub_nc_u32_e32 v11, 0, v8
	v_add_nc_u32_e32 v7, -1, v7
	v_mul_lo_u32 v9, 0xbc8f, v9
	v_cvt_f32_u32_e32 v7, v7
	v_cmp_lt_u32_e32 vcc_lo, v9, v8
	v_cndmask_b32_e32 v8, v11, v10, vcc_lo
	v_add_nc_u32_e32 v8, v8, v9
	v_mul_hi_u32 v9, 0xbc8f1391, v8
	v_lshrrev_b32_e32 v9, 15, v9
	v_mul_u32_u24_e32 v10, 0xadc8, v9
	v_mul_u32_u24_e32 v9, 0xd47, v9
	v_sub_nc_u32_e32 v10, v8, v10
	v_xor_b32_e32 v11, 0x7fffffff, v9
	v_sub_nc_u32_e32 v12, 0, v9
	v_add_nc_u32_e32 v8, -1, v8
	v_mul_lo_u32 v10, 0xbc8f, v10
	v_cvt_f32_u32_e32 v8, v8
	v_fma_f32 v8, 0x30000000, v8, 0
	v_cmp_lt_u32_e32 vcc_lo, v10, v9
	v_mul_f32_e32 v8, v8, v8
	v_cndmask_b32_e32 v9, v12, v11, vcc_lo
	v_fma_f32 v11, 0x30000000, v7, 0
	v_add_nc_u32_e32 v9, v9, v10
	v_fmac_f32_e32 v8, v11, v11
	v_mul_hi_u32 v10, 0xbc8f1391, v9
	v_mul_f32_e32 v11, 0x4f800000, v8
	v_lshrrev_b32_e32 v7, 15, v10
	v_mul_u32_u24_e32 v10, 0xadc8, v7
	v_mul_u32_u24_e32 v7, 0xd47, v7
	v_sub_nc_u32_e32 v10, v9, v10
	v_xor_b32_e32 v12, 0x7fffffff, v7
	v_sub_nc_u32_e32 v13, 0, v7
	v_add_nc_u32_e32 v9, -1, v9
	v_mul_lo_u32 v10, 0xbc8f, v10
	v_cvt_f32_u32_e32 v9, v9
	v_fma_f32 v9, 0x30000000, v9, 0
	v_cmp_lt_u32_e32 vcc_lo, v10, v7
	v_cndmask_b32_e32 v7, v13, v12, vcc_lo
	v_cmp_gt_f32_e32 vcc_lo, 0xf800000, v8
	v_add_f32_e32 v12, 1.0, v5
	v_add_nc_u32_e32 v7, v7, v10
	v_cndmask_b32_e32 v8, v8, v11, vcc_lo
	v_add_nc_u32_e32 v10, -1, v7
	v_cvt_f32_u32_e32 v10, v10
	v_fma_f32 v10, 0x30000000, v10, 0
	v_mul_f32_e32 v10, v10, v10
	v_fmac_f32_e32 v10, v9, v9
	v_sqrt_f32_e32 v9, v8
	v_mul_f32_e32 v11, 0x4f800000, v10
	v_cmp_gt_f32_e64 s0, 0xf800000, v10
	v_cndmask_b32_e64 v10, v10, v11, s0
	v_add_nc_u32_e32 v11, -1, v9
	v_add_nc_u32_e32 v13, 1, v9
	v_sqrt_f32_e32 v14, v10
	v_fma_f32 v15, -v11, v9, v8
	v_fma_f32 v16, -v13, v9, v8
	v_cmp_ge_f32_e64 s1, 0, v15
	v_cndmask_b32_e64 v9, v9, v11, s1
	v_cmp_lt_f32_e64 s1, 0, v16
	v_add_nc_u32_e32 v11, -1, v14
	v_cndmask_b32_e64 v9, v9, v13, s1
	v_add_nc_u32_e32 v13, 1, v14
	v_fma_f32 v15, -v11, v14, v10
	v_mul_f32_e32 v16, 0x37800000, v9
	v_fma_f32 v17, -v13, v14, v10
	v_cmp_ge_f32_e64 s1, 0, v15
	v_cndmask_b32_e32 v9, v9, v16, vcc_lo
	v_cmp_class_f32_e64 vcc_lo, v8, 0x260
	v_cndmask_b32_e64 v11, v14, v11, s1
	v_cmp_lt_f32_e64 s1, 0, v17
	v_cndmask_b32_e32 v8, v9, v8, vcc_lo
	v_cndmask_b32_e64 v11, v11, v13, s1
	v_cmp_nge_f32_e32 vcc_lo, 1.0, v8
	v_mul_f32_e32 v9, 0x37800000, v11
	v_cndmask_b32_e32 v5, v12, v5, vcc_lo
	v_cmp_class_f32_e64 vcc_lo, v10, 0x260
	v_cndmask_b32_e64 v8, v11, v9, s0
	v_add_f32_e32 v9, 1.0, v5
	v_cndmask_b32_e32 v8, v8, v10, vcc_lo
	v_cmp_nge_f32_e32 vcc_lo, 1.0, v8
	v_cndmask_b32_e32 v5, v9, v5, vcc_lo
	s_cbranch_scc1 .LBB35_14
; %bb.15:
	v_add_nc_u32_e32 v7, 0x7f256216, v6
	s_movk_i32 s2, 0x2710
	v_lshrrev_b32_e32 v8, 19, v7
	v_xor3_b32 v7, v7, v8, 0xc761c23c
	v_lshl_add_u32 v7, v7, 5, v7
	v_add_nc_u32_e32 v8, 0xe9f8cc1d, v7
	v_lshl_add_u32 v7, v7, 9, 0xaccf6200
	v_xor_b32_e32 v7, v8, v7
	v_lshlrev_b32_e32 v8, 3, v7
	v_add3_u32 v7, v7, v8, 0xfd7046c5
	v_lshrrev_b32_e32 v8, 16, v7
	v_xor3_b32 v7, v7, v8, 0xb55a4f09
	v_mul_hi_u32 v8, v7, 3
	v_sub_nc_u32_e32 v9, v7, v8
	v_lshrrev_b32_e32 v9, 1, v9
	v_add_nc_u32_e32 v8, v9, v8
	v_lshrrev_b32_e32 v8, 30, v8
	v_mul_lo_u32 v8, 0x7fffffff, v8
	v_sub_nc_u32_e32 v7, v7, v8
	v_max_u32_e32 v8, 1, v7
	v_mov_b32_e32 v7, 0
.LBB35_16:                              ; =>This Inner Loop Header: Depth=1
	v_mul_hi_u32 v9, 0xbc8f1391, v8
	s_add_i32 s2, s2, -2
	s_cmp_lg_u32 s2, 0
	v_lshrrev_b32_e32 v9, 15, v9
	v_mul_u32_u24_e32 v10, 0xadc8, v9
	v_mul_u32_u24_e32 v9, 0xd47, v9
	v_sub_nc_u32_e32 v8, v8, v10
	v_xor_b32_e32 v10, 0x7fffffff, v9
	v_sub_nc_u32_e32 v11, 0, v9
	v_mul_lo_u32 v8, 0xbc8f, v8
	v_cmp_lt_u32_e32 vcc_lo, v8, v9
	v_cndmask_b32_e32 v9, v11, v10, vcc_lo
	v_add_nc_u32_e32 v8, v9, v8
	v_mul_hi_u32 v9, 0xbc8f1391, v8
	v_lshrrev_b32_e32 v9, 15, v9
	v_mul_u32_u24_e32 v10, 0xadc8, v9
	v_mul_u32_u24_e32 v9, 0xd47, v9
	v_sub_nc_u32_e32 v10, v8, v10
	v_xor_b32_e32 v11, 0x7fffffff, v9
	v_sub_nc_u32_e32 v12, 0, v9
	v_add_nc_u32_e32 v8, -1, v8
	v_mul_lo_u32 v10, 0xbc8f, v10
	v_cvt_f32_u32_e32 v8, v8
	v_cmp_lt_u32_e32 vcc_lo, v10, v9
	v_cndmask_b32_e32 v9, v12, v11, vcc_lo
	v_add_nc_u32_e32 v9, v9, v10
	v_mul_hi_u32 v10, 0xbc8f1391, v9
	v_lshrrev_b32_e32 v10, 15, v10
	v_mul_u32_u24_e32 v11, 0xadc8, v10
	v_mul_u32_u24_e32 v10, 0xd47, v10
	v_sub_nc_u32_e32 v11, v9, v11
	v_xor_b32_e32 v12, 0x7fffffff, v10
	v_sub_nc_u32_e32 v13, 0, v10
	v_add_nc_u32_e32 v9, -1, v9
	v_mul_lo_u32 v11, 0xbc8f, v11
	v_cvt_f32_u32_e32 v9, v9
	v_fma_f32 v9, 0x30000000, v9, 0
	v_cmp_lt_u32_e32 vcc_lo, v11, v10
	v_mul_f32_e32 v9, v9, v9
	v_cndmask_b32_e32 v10, v13, v12, vcc_lo
	v_fma_f32 v12, 0x30000000, v8, 0
	v_add_nc_u32_e32 v10, v10, v11
	v_fmac_f32_e32 v9, v12, v12
	v_mul_hi_u32 v11, 0xbc8f1391, v10
	v_mul_f32_e32 v12, 0x4f800000, v9
	v_lshrrev_b32_e32 v8, 15, v11
	v_mul_u32_u24_e32 v11, 0xadc8, v8
	v_mul_u32_u24_e32 v8, 0xd47, v8
	v_sub_nc_u32_e32 v11, v10, v11
	v_xor_b32_e32 v13, 0x7fffffff, v8
	v_sub_nc_u32_e32 v14, 0, v8
	v_add_nc_u32_e32 v10, -1, v10
	v_mul_lo_u32 v11, 0xbc8f, v11
	v_cvt_f32_u32_e32 v10, v10
	v_fma_f32 v10, 0x30000000, v10, 0
	v_cmp_lt_u32_e32 vcc_lo, v11, v8
	v_cndmask_b32_e32 v8, v14, v13, vcc_lo
	v_cmp_gt_f32_e32 vcc_lo, 0xf800000, v9
	v_add_f32_e32 v13, 1.0, v7
	v_add_nc_u32_e32 v8, v8, v11
	v_cndmask_b32_e32 v9, v9, v12, vcc_lo
	v_add_nc_u32_e32 v11, -1, v8
	v_cvt_f32_u32_e32 v11, v11
	v_fma_f32 v11, 0x30000000, v11, 0
	v_mul_f32_e32 v11, v11, v11
	v_fmac_f32_e32 v11, v10, v10
	v_sqrt_f32_e32 v10, v9
	v_mul_f32_e32 v12, 0x4f800000, v11
	v_cmp_gt_f32_e64 s0, 0xf800000, v11
	v_cndmask_b32_e64 v11, v11, v12, s0
	v_add_nc_u32_e32 v12, -1, v10
	v_add_nc_u32_e32 v14, 1, v10
	v_sqrt_f32_e32 v15, v11
	v_fma_f32 v16, -v12, v10, v9
	v_fma_f32 v17, -v14, v10, v9
	v_cmp_ge_f32_e64 s1, 0, v16
	v_cndmask_b32_e64 v10, v10, v12, s1
	v_cmp_lt_f32_e64 s1, 0, v17
	v_add_nc_u32_e32 v12, -1, v15
	v_cndmask_b32_e64 v10, v10, v14, s1
	v_add_nc_u32_e32 v14, 1, v15
	v_fma_f32 v16, -v12, v15, v11
	v_mul_f32_e32 v17, 0x37800000, v10
	v_fma_f32 v18, -v14, v15, v11
	v_cmp_ge_f32_e64 s1, 0, v16
	v_cndmask_b32_e32 v10, v10, v17, vcc_lo
	v_cmp_class_f32_e64 vcc_lo, v9, 0x260
	v_cndmask_b32_e64 v12, v15, v12, s1
	v_cmp_lt_f32_e64 s1, 0, v18
	v_cndmask_b32_e32 v9, v10, v9, vcc_lo
	v_cndmask_b32_e64 v12, v12, v14, s1
	v_cmp_nge_f32_e32 vcc_lo, 1.0, v9
	v_mul_f32_e32 v10, 0x37800000, v12
	v_cndmask_b32_e32 v7, v13, v7, vcc_lo
	v_cmp_class_f32_e64 vcc_lo, v11, 0x260
	v_cndmask_b32_e64 v9, v12, v10, s0
	v_add_f32_e32 v10, 1.0, v7
	v_cndmask_b32_e32 v9, v9, v11, vcc_lo
	v_cmp_nge_f32_e32 vcc_lo, 1.0, v9
	v_cndmask_b32_e32 v7, v10, v7, vcc_lo
	s_cbranch_scc1 .LBB35_16
; %bb.17:
	v_add_nc_u32_e32 v8, 0x7f356316, v6
	s_movk_i32 s2, 0x2710
	v_lshrrev_b32_e32 v9, 19, v8
	v_xor3_b32 v8, v8, v9, 0xc761c23c
	v_lshl_add_u32 v8, v8, 5, v8
	v_add_nc_u32_e32 v9, 0xe9f8cc1d, v8
	v_lshl_add_u32 v8, v8, 9, 0xaccf6200
	v_xor_b32_e32 v8, v9, v8
	v_lshlrev_b32_e32 v9, 3, v8
	v_add3_u32 v8, v8, v9, 0xfd7046c5
	v_lshrrev_b32_e32 v9, 16, v8
	v_xor3_b32 v8, v8, v9, 0xb55a4f09
	v_mul_hi_u32 v9, v8, 3
	v_sub_nc_u32_e32 v10, v8, v9
	v_lshrrev_b32_e32 v10, 1, v10
	v_add_nc_u32_e32 v9, v10, v9
	v_lshrrev_b32_e32 v9, 30, v9
	v_mul_lo_u32 v9, 0x7fffffff, v9
	v_sub_nc_u32_e32 v8, v8, v9
	v_max_u32_e32 v9, 1, v8
	v_mov_b32_e32 v8, 0
.LBB35_18:                              ; =>This Inner Loop Header: Depth=1
	v_mul_hi_u32 v10, 0xbc8f1391, v9
	s_add_i32 s2, s2, -2
	s_cmp_lg_u32 s2, 0
	v_lshrrev_b32_e32 v10, 15, v10
	v_mul_u32_u24_e32 v11, 0xadc8, v10
	v_mul_u32_u24_e32 v10, 0xd47, v10
	v_sub_nc_u32_e32 v9, v9, v11
	v_xor_b32_e32 v11, 0x7fffffff, v10
	v_sub_nc_u32_e32 v12, 0, v10
	v_mul_lo_u32 v9, 0xbc8f, v9
	v_cmp_lt_u32_e32 vcc_lo, v9, v10
	v_cndmask_b32_e32 v10, v12, v11, vcc_lo
	v_add_nc_u32_e32 v9, v10, v9
	v_mul_hi_u32 v10, 0xbc8f1391, v9
	v_lshrrev_b32_e32 v10, 15, v10
	v_mul_u32_u24_e32 v11, 0xadc8, v10
	v_mul_u32_u24_e32 v10, 0xd47, v10
	v_sub_nc_u32_e32 v11, v9, v11
	v_xor_b32_e32 v12, 0x7fffffff, v10
	v_sub_nc_u32_e32 v13, 0, v10
	v_add_nc_u32_e32 v9, -1, v9
	v_mul_lo_u32 v11, 0xbc8f, v11
	v_cvt_f32_u32_e32 v9, v9
	v_cmp_lt_u32_e32 vcc_lo, v11, v10
	v_cndmask_b32_e32 v10, v13, v12, vcc_lo
	v_add_nc_u32_e32 v10, v10, v11
	v_mul_hi_u32 v11, 0xbc8f1391, v10
	v_lshrrev_b32_e32 v11, 15, v11
	v_mul_u32_u24_e32 v12, 0xadc8, v11
	v_mul_u32_u24_e32 v11, 0xd47, v11
	v_sub_nc_u32_e32 v12, v10, v12
	v_xor_b32_e32 v13, 0x7fffffff, v11
	v_sub_nc_u32_e32 v14, 0, v11
	v_add_nc_u32_e32 v10, -1, v10
	v_mul_lo_u32 v12, 0xbc8f, v12
	v_cvt_f32_u32_e32 v10, v10
	v_fma_f32 v10, 0x30000000, v10, 0
	v_cmp_lt_u32_e32 vcc_lo, v12, v11
	v_mul_f32_e32 v10, v10, v10
	v_cndmask_b32_e32 v11, v14, v13, vcc_lo
	v_fma_f32 v13, 0x30000000, v9, 0
	v_add_nc_u32_e32 v11, v11, v12
	v_fmac_f32_e32 v10, v13, v13
	v_mul_hi_u32 v12, 0xbc8f1391, v11
	v_mul_f32_e32 v13, 0x4f800000, v10
	v_lshrrev_b32_e32 v9, 15, v12
	v_mul_u32_u24_e32 v12, 0xadc8, v9
	v_mul_u32_u24_e32 v9, 0xd47, v9
	v_sub_nc_u32_e32 v12, v11, v12
	v_xor_b32_e32 v14, 0x7fffffff, v9
	v_sub_nc_u32_e32 v15, 0, v9
	v_add_nc_u32_e32 v11, -1, v11
	v_mul_lo_u32 v12, 0xbc8f, v12
	v_cvt_f32_u32_e32 v11, v11
	v_fma_f32 v11, 0x30000000, v11, 0
	v_cmp_lt_u32_e32 vcc_lo, v12, v9
	v_cndmask_b32_e32 v9, v15, v14, vcc_lo
	v_cmp_gt_f32_e32 vcc_lo, 0xf800000, v10
	v_add_f32_e32 v14, 1.0, v8
	v_add_nc_u32_e32 v9, v9, v12
	v_cndmask_b32_e32 v10, v10, v13, vcc_lo
	v_add_nc_u32_e32 v12, -1, v9
	v_cvt_f32_u32_e32 v12, v12
	v_fma_f32 v12, 0x30000000, v12, 0
	v_mul_f32_e32 v12, v12, v12
	v_fmac_f32_e32 v12, v11, v11
	v_sqrt_f32_e32 v11, v10
	v_mul_f32_e32 v13, 0x4f800000, v12
	v_cmp_gt_f32_e64 s0, 0xf800000, v12
	v_cndmask_b32_e64 v12, v12, v13, s0
	v_add_nc_u32_e32 v13, -1, v11
	v_add_nc_u32_e32 v15, 1, v11
	v_sqrt_f32_e32 v16, v12
	v_fma_f32 v17, -v13, v11, v10
	v_fma_f32 v18, -v15, v11, v10
	v_cmp_ge_f32_e64 s1, 0, v17
	v_cndmask_b32_e64 v11, v11, v13, s1
	v_cmp_lt_f32_e64 s1, 0, v18
	v_add_nc_u32_e32 v13, -1, v16
	v_cndmask_b32_e64 v11, v11, v15, s1
	v_add_nc_u32_e32 v15, 1, v16
	v_fma_f32 v17, -v13, v16, v12
	v_mul_f32_e32 v18, 0x37800000, v11
	v_fma_f32 v19, -v15, v16, v12
	v_cmp_ge_f32_e64 s1, 0, v17
	v_cndmask_b32_e32 v11, v11, v18, vcc_lo
	v_cmp_class_f32_e64 vcc_lo, v10, 0x260
	v_cndmask_b32_e64 v13, v16, v13, s1
	v_cmp_lt_f32_e64 s1, 0, v19
	v_cndmask_b32_e32 v10, v11, v10, vcc_lo
	v_cndmask_b32_e64 v13, v13, v15, s1
	v_cmp_nge_f32_e32 vcc_lo, 1.0, v10
	v_mul_f32_e32 v11, 0x37800000, v13
	v_cndmask_b32_e32 v8, v14, v8, vcc_lo
	v_cmp_class_f32_e64 vcc_lo, v12, 0x260
	v_cndmask_b32_e64 v10, v13, v11, s0
	v_add_f32_e32 v11, 1.0, v8
	v_cndmask_b32_e32 v10, v10, v12, vcc_lo
	v_cmp_nge_f32_e32 vcc_lo, 1.0, v10
	v_cndmask_b32_e32 v8, v11, v8, vcc_lo
	s_cbranch_scc1 .LBB35_18
; %bb.19:
	v_add_nc_u32_e32 v9, 0x7f456416, v6
	s_movk_i32 s2, 0x2710
	v_lshrrev_b32_e32 v10, 19, v9
	v_xor3_b32 v9, v9, v10, 0xc761c23c
	v_lshl_add_u32 v9, v9, 5, v9
	v_add_nc_u32_e32 v10, 0xe9f8cc1d, v9
	v_lshl_add_u32 v9, v9, 9, 0xaccf6200
	v_xor_b32_e32 v9, v10, v9
	v_lshlrev_b32_e32 v10, 3, v9
	v_add3_u32 v9, v9, v10, 0xfd7046c5
	v_lshrrev_b32_e32 v10, 16, v9
	v_xor3_b32 v9, v9, v10, 0xb55a4f09
	v_mul_hi_u32 v10, v9, 3
	v_sub_nc_u32_e32 v11, v9, v10
	v_lshrrev_b32_e32 v11, 1, v11
	v_add_nc_u32_e32 v10, v11, v10
	v_lshrrev_b32_e32 v10, 30, v10
	v_mul_lo_u32 v10, 0x7fffffff, v10
	v_sub_nc_u32_e32 v9, v9, v10
	v_max_u32_e32 v10, 1, v9
	v_mov_b32_e32 v9, 0
.LBB35_20:                              ; =>This Inner Loop Header: Depth=1
	v_mul_hi_u32 v11, 0xbc8f1391, v10
	s_add_i32 s2, s2, -2
	s_cmp_lg_u32 s2, 0
	v_lshrrev_b32_e32 v11, 15, v11
	v_mul_u32_u24_e32 v12, 0xadc8, v11
	v_mul_u32_u24_e32 v11, 0xd47, v11
	v_sub_nc_u32_e32 v10, v10, v12
	v_xor_b32_e32 v12, 0x7fffffff, v11
	v_sub_nc_u32_e32 v13, 0, v11
	v_mul_lo_u32 v10, 0xbc8f, v10
	v_cmp_lt_u32_e32 vcc_lo, v10, v11
	v_cndmask_b32_e32 v11, v13, v12, vcc_lo
	v_add_nc_u32_e32 v10, v11, v10
	v_mul_hi_u32 v11, 0xbc8f1391, v10
	v_lshrrev_b32_e32 v11, 15, v11
	v_mul_u32_u24_e32 v12, 0xadc8, v11
	v_mul_u32_u24_e32 v11, 0xd47, v11
	v_sub_nc_u32_e32 v12, v10, v12
	v_xor_b32_e32 v13, 0x7fffffff, v11
	v_sub_nc_u32_e32 v14, 0, v11
	v_add_nc_u32_e32 v10, -1, v10
	v_mul_lo_u32 v12, 0xbc8f, v12
	v_cvt_f32_u32_e32 v10, v10
	v_cmp_lt_u32_e32 vcc_lo, v12, v11
	v_cndmask_b32_e32 v11, v14, v13, vcc_lo
	v_add_nc_u32_e32 v11, v11, v12
	v_mul_hi_u32 v12, 0xbc8f1391, v11
	v_lshrrev_b32_e32 v12, 15, v12
	v_mul_u32_u24_e32 v13, 0xadc8, v12
	v_mul_u32_u24_e32 v12, 0xd47, v12
	v_sub_nc_u32_e32 v13, v11, v13
	v_xor_b32_e32 v14, 0x7fffffff, v12
	v_sub_nc_u32_e32 v15, 0, v12
	v_add_nc_u32_e32 v11, -1, v11
	v_mul_lo_u32 v13, 0xbc8f, v13
	v_cvt_f32_u32_e32 v11, v11
	v_fma_f32 v11, 0x30000000, v11, 0
	v_cmp_lt_u32_e32 vcc_lo, v13, v12
	v_mul_f32_e32 v11, v11, v11
	v_cndmask_b32_e32 v12, v15, v14, vcc_lo
	v_fma_f32 v14, 0x30000000, v10, 0
	v_add_nc_u32_e32 v12, v12, v13
	v_fmac_f32_e32 v11, v14, v14
	v_mul_hi_u32 v13, 0xbc8f1391, v12
	v_mul_f32_e32 v14, 0x4f800000, v11
	v_lshrrev_b32_e32 v10, 15, v13
	v_mul_u32_u24_e32 v13, 0xadc8, v10
	v_mul_u32_u24_e32 v10, 0xd47, v10
	v_sub_nc_u32_e32 v13, v12, v13
	v_xor_b32_e32 v15, 0x7fffffff, v10
	v_sub_nc_u32_e32 v16, 0, v10
	v_add_nc_u32_e32 v12, -1, v12
	v_mul_lo_u32 v13, 0xbc8f, v13
	v_cvt_f32_u32_e32 v12, v12
	v_fma_f32 v12, 0x30000000, v12, 0
	v_cmp_lt_u32_e32 vcc_lo, v13, v10
	v_cndmask_b32_e32 v10, v16, v15, vcc_lo
	v_cmp_gt_f32_e32 vcc_lo, 0xf800000, v11
	v_add_f32_e32 v15, 1.0, v9
	v_add_nc_u32_e32 v10, v10, v13
	v_cndmask_b32_e32 v11, v11, v14, vcc_lo
	v_add_nc_u32_e32 v13, -1, v10
	v_cvt_f32_u32_e32 v13, v13
	v_fma_f32 v13, 0x30000000, v13, 0
	v_mul_f32_e32 v13, v13, v13
	v_fmac_f32_e32 v13, v12, v12
	v_sqrt_f32_e32 v12, v11
	v_mul_f32_e32 v14, 0x4f800000, v13
	v_cmp_gt_f32_e64 s0, 0xf800000, v13
	v_cndmask_b32_e64 v13, v13, v14, s0
	v_add_nc_u32_e32 v14, -1, v12
	v_add_nc_u32_e32 v16, 1, v12
	v_sqrt_f32_e32 v17, v13
	v_fma_f32 v18, -v14, v12, v11
	v_fma_f32 v19, -v16, v12, v11
	v_cmp_ge_f32_e64 s1, 0, v18
	v_cndmask_b32_e64 v12, v12, v14, s1
	v_cmp_lt_f32_e64 s1, 0, v19
	v_add_nc_u32_e32 v14, -1, v17
	v_cndmask_b32_e64 v12, v12, v16, s1
	v_add_nc_u32_e32 v16, 1, v17
	v_fma_f32 v18, -v14, v17, v13
	v_mul_f32_e32 v19, 0x37800000, v12
	v_fma_f32 v20, -v16, v17, v13
	v_cmp_ge_f32_e64 s1, 0, v18
	v_cndmask_b32_e32 v12, v12, v19, vcc_lo
	v_cmp_class_f32_e64 vcc_lo, v11, 0x260
	v_cndmask_b32_e64 v14, v17, v14, s1
	v_cmp_lt_f32_e64 s1, 0, v20
	v_cndmask_b32_e32 v11, v12, v11, vcc_lo
	v_cndmask_b32_e64 v14, v14, v16, s1
	v_cmp_nge_f32_e32 vcc_lo, 1.0, v11
	v_mul_f32_e32 v12, 0x37800000, v14
	v_cndmask_b32_e32 v9, v15, v9, vcc_lo
	v_cmp_class_f32_e64 vcc_lo, v13, 0x260
	v_cndmask_b32_e64 v11, v14, v12, s0
	v_add_f32_e32 v12, 1.0, v9
	v_cndmask_b32_e32 v11, v11, v13, vcc_lo
	v_cmp_nge_f32_e32 vcc_lo, 1.0, v11
	v_cndmask_b32_e32 v9, v12, v9, vcc_lo
	s_cbranch_scc1 .LBB35_20
; %bb.21:
	v_add_nc_u32_e32 v10, 0x7f556516, v6
	s_movk_i32 s2, 0x2710
	v_lshrrev_b32_e32 v11, 19, v10
	v_xor3_b32 v10, v10, v11, 0xc761c23c
	v_lshl_add_u32 v10, v10, 5, v10
	v_add_nc_u32_e32 v11, 0xe9f8cc1d, v10
	v_lshl_add_u32 v10, v10, 9, 0xaccf6200
	v_xor_b32_e32 v10, v11, v10
	v_lshlrev_b32_e32 v11, 3, v10
	v_add3_u32 v10, v10, v11, 0xfd7046c5
	v_lshrrev_b32_e32 v11, 16, v10
	v_xor3_b32 v10, v10, v11, 0xb55a4f09
	v_mul_hi_u32 v11, v10, 3
	v_sub_nc_u32_e32 v12, v10, v11
	v_lshrrev_b32_e32 v12, 1, v12
	v_add_nc_u32_e32 v11, v12, v11
	v_lshrrev_b32_e32 v11, 30, v11
	v_mul_lo_u32 v11, 0x7fffffff, v11
	v_sub_nc_u32_e32 v10, v10, v11
	v_max_u32_e32 v11, 1, v10
	v_mov_b32_e32 v10, 0
.LBB35_22:                              ; =>This Inner Loop Header: Depth=1
	v_mul_hi_u32 v12, 0xbc8f1391, v11
	s_add_i32 s2, s2, -2
	s_cmp_lg_u32 s2, 0
	v_lshrrev_b32_e32 v12, 15, v12
	v_mul_u32_u24_e32 v13, 0xadc8, v12
	v_mul_u32_u24_e32 v12, 0xd47, v12
	v_sub_nc_u32_e32 v11, v11, v13
	v_xor_b32_e32 v13, 0x7fffffff, v12
	v_sub_nc_u32_e32 v14, 0, v12
	v_mul_lo_u32 v11, 0xbc8f, v11
	v_cmp_lt_u32_e32 vcc_lo, v11, v12
	v_cndmask_b32_e32 v12, v14, v13, vcc_lo
	v_add_nc_u32_e32 v11, v12, v11
	v_mul_hi_u32 v12, 0xbc8f1391, v11
	v_lshrrev_b32_e32 v12, 15, v12
	v_mul_u32_u24_e32 v13, 0xadc8, v12
	v_mul_u32_u24_e32 v12, 0xd47, v12
	v_sub_nc_u32_e32 v13, v11, v13
	v_xor_b32_e32 v14, 0x7fffffff, v12
	v_sub_nc_u32_e32 v15, 0, v12
	v_add_nc_u32_e32 v11, -1, v11
	v_mul_lo_u32 v13, 0xbc8f, v13
	v_cvt_f32_u32_e32 v11, v11
	v_cmp_lt_u32_e32 vcc_lo, v13, v12
	v_cndmask_b32_e32 v12, v15, v14, vcc_lo
	v_add_nc_u32_e32 v12, v12, v13
	v_mul_hi_u32 v13, 0xbc8f1391, v12
	v_lshrrev_b32_e32 v13, 15, v13
	v_mul_u32_u24_e32 v14, 0xadc8, v13
	v_mul_u32_u24_e32 v13, 0xd47, v13
	v_sub_nc_u32_e32 v14, v12, v14
	v_xor_b32_e32 v15, 0x7fffffff, v13
	v_sub_nc_u32_e32 v16, 0, v13
	v_add_nc_u32_e32 v12, -1, v12
	v_mul_lo_u32 v14, 0xbc8f, v14
	v_cvt_f32_u32_e32 v12, v12
	v_fma_f32 v12, 0x30000000, v12, 0
	v_cmp_lt_u32_e32 vcc_lo, v14, v13
	v_mul_f32_e32 v12, v12, v12
	v_cndmask_b32_e32 v13, v16, v15, vcc_lo
	v_fma_f32 v15, 0x30000000, v11, 0
	v_add_nc_u32_e32 v13, v13, v14
	v_fmac_f32_e32 v12, v15, v15
	v_mul_hi_u32 v14, 0xbc8f1391, v13
	v_mul_f32_e32 v15, 0x4f800000, v12
	v_lshrrev_b32_e32 v11, 15, v14
	v_mul_u32_u24_e32 v14, 0xadc8, v11
	v_mul_u32_u24_e32 v11, 0xd47, v11
	v_sub_nc_u32_e32 v14, v13, v14
	v_xor_b32_e32 v16, 0x7fffffff, v11
	v_sub_nc_u32_e32 v17, 0, v11
	v_add_nc_u32_e32 v13, -1, v13
	v_mul_lo_u32 v14, 0xbc8f, v14
	v_cvt_f32_u32_e32 v13, v13
	v_fma_f32 v13, 0x30000000, v13, 0
	v_cmp_lt_u32_e32 vcc_lo, v14, v11
	v_cndmask_b32_e32 v11, v17, v16, vcc_lo
	v_cmp_gt_f32_e32 vcc_lo, 0xf800000, v12
	v_add_f32_e32 v16, 1.0, v10
	v_add_nc_u32_e32 v11, v11, v14
	v_cndmask_b32_e32 v12, v12, v15, vcc_lo
	v_add_nc_u32_e32 v14, -1, v11
	v_cvt_f32_u32_e32 v14, v14
	v_fma_f32 v14, 0x30000000, v14, 0
	v_mul_f32_e32 v14, v14, v14
	v_fmac_f32_e32 v14, v13, v13
	v_sqrt_f32_e32 v13, v12
	v_mul_f32_e32 v15, 0x4f800000, v14
	v_cmp_gt_f32_e64 s0, 0xf800000, v14
	v_cndmask_b32_e64 v14, v14, v15, s0
	v_add_nc_u32_e32 v15, -1, v13
	v_add_nc_u32_e32 v17, 1, v13
	v_sqrt_f32_e32 v18, v14
	v_fma_f32 v19, -v15, v13, v12
	v_fma_f32 v20, -v17, v13, v12
	v_cmp_ge_f32_e64 s1, 0, v19
	v_cndmask_b32_e64 v13, v13, v15, s1
	v_cmp_lt_f32_e64 s1, 0, v20
	v_add_nc_u32_e32 v15, -1, v18
	v_cndmask_b32_e64 v13, v13, v17, s1
	v_add_nc_u32_e32 v17, 1, v18
	v_fma_f32 v19, -v15, v18, v14
	v_mul_f32_e32 v20, 0x37800000, v13
	v_fma_f32 v21, -v17, v18, v14
	v_cmp_ge_f32_e64 s1, 0, v19
	v_cndmask_b32_e32 v13, v13, v20, vcc_lo
	v_cmp_class_f32_e64 vcc_lo, v12, 0x260
	v_cndmask_b32_e64 v15, v18, v15, s1
	v_cmp_lt_f32_e64 s1, 0, v21
	v_cndmask_b32_e32 v12, v13, v12, vcc_lo
	v_cndmask_b32_e64 v15, v15, v17, s1
	v_cmp_nge_f32_e32 vcc_lo, 1.0, v12
	v_mul_f32_e32 v13, 0x37800000, v15
	v_cndmask_b32_e32 v10, v16, v10, vcc_lo
	v_cmp_class_f32_e64 vcc_lo, v14, 0x260
	v_cndmask_b32_e64 v12, v15, v13, s0
	v_add_f32_e32 v13, 1.0, v10
	v_cndmask_b32_e32 v12, v12, v14, vcc_lo
	v_cmp_nge_f32_e32 vcc_lo, 1.0, v12
	v_cndmask_b32_e32 v10, v13, v10, vcc_lo
	s_cbranch_scc1 .LBB35_22
; %bb.23:
	v_add_nc_u32_e32 v11, 0x7f656616, v6
	s_movk_i32 s2, 0x2710
	v_lshrrev_b32_e32 v12, 19, v11
	v_xor3_b32 v11, v11, v12, 0xc761c23c
	v_lshl_add_u32 v11, v11, 5, v11
	v_add_nc_u32_e32 v12, 0xe9f8cc1d, v11
	v_lshl_add_u32 v11, v11, 9, 0xaccf6200
	v_xor_b32_e32 v11, v12, v11
	v_lshlrev_b32_e32 v12, 3, v11
	v_add3_u32 v11, v11, v12, 0xfd7046c5
	v_lshrrev_b32_e32 v12, 16, v11
	v_xor3_b32 v11, v11, v12, 0xb55a4f09
	v_mul_hi_u32 v12, v11, 3
	v_sub_nc_u32_e32 v13, v11, v12
	v_lshrrev_b32_e32 v13, 1, v13
	v_add_nc_u32_e32 v12, v13, v12
	v_lshrrev_b32_e32 v12, 30, v12
	v_mul_lo_u32 v12, 0x7fffffff, v12
	v_sub_nc_u32_e32 v11, v11, v12
	v_max_u32_e32 v12, 1, v11
	v_mov_b32_e32 v11, 0
.LBB35_24:                              ; =>This Inner Loop Header: Depth=1
	v_mul_hi_u32 v13, 0xbc8f1391, v12
	s_add_i32 s2, s2, -2
	s_cmp_lg_u32 s2, 0
	v_lshrrev_b32_e32 v13, 15, v13
	v_mul_u32_u24_e32 v14, 0xadc8, v13
	v_mul_u32_u24_e32 v13, 0xd47, v13
	v_sub_nc_u32_e32 v12, v12, v14
	v_xor_b32_e32 v14, 0x7fffffff, v13
	v_sub_nc_u32_e32 v15, 0, v13
	v_mul_lo_u32 v12, 0xbc8f, v12
	v_cmp_lt_u32_e32 vcc_lo, v12, v13
	v_cndmask_b32_e32 v13, v15, v14, vcc_lo
	v_add_nc_u32_e32 v12, v13, v12
	v_mul_hi_u32 v13, 0xbc8f1391, v12
	v_lshrrev_b32_e32 v13, 15, v13
	v_mul_u32_u24_e32 v14, 0xadc8, v13
	v_mul_u32_u24_e32 v13, 0xd47, v13
	v_sub_nc_u32_e32 v14, v12, v14
	v_xor_b32_e32 v15, 0x7fffffff, v13
	v_sub_nc_u32_e32 v16, 0, v13
	v_add_nc_u32_e32 v12, -1, v12
	v_mul_lo_u32 v14, 0xbc8f, v14
	v_cvt_f32_u32_e32 v12, v12
	v_cmp_lt_u32_e32 vcc_lo, v14, v13
	v_cndmask_b32_e32 v13, v16, v15, vcc_lo
	v_add_nc_u32_e32 v13, v13, v14
	v_mul_hi_u32 v14, 0xbc8f1391, v13
	v_lshrrev_b32_e32 v14, 15, v14
	v_mul_u32_u24_e32 v15, 0xadc8, v14
	v_mul_u32_u24_e32 v14, 0xd47, v14
	v_sub_nc_u32_e32 v15, v13, v15
	v_xor_b32_e32 v16, 0x7fffffff, v14
	v_sub_nc_u32_e32 v17, 0, v14
	v_add_nc_u32_e32 v13, -1, v13
	v_mul_lo_u32 v15, 0xbc8f, v15
	v_cvt_f32_u32_e32 v13, v13
	v_fma_f32 v13, 0x30000000, v13, 0
	v_cmp_lt_u32_e32 vcc_lo, v15, v14
	v_mul_f32_e32 v13, v13, v13
	v_cndmask_b32_e32 v14, v17, v16, vcc_lo
	v_fma_f32 v16, 0x30000000, v12, 0
	v_add_nc_u32_e32 v14, v14, v15
	v_fmac_f32_e32 v13, v16, v16
	v_mul_hi_u32 v15, 0xbc8f1391, v14
	v_mul_f32_e32 v16, 0x4f800000, v13
	v_lshrrev_b32_e32 v12, 15, v15
	v_mul_u32_u24_e32 v15, 0xadc8, v12
	v_mul_u32_u24_e32 v12, 0xd47, v12
	v_sub_nc_u32_e32 v15, v14, v15
	v_xor_b32_e32 v17, 0x7fffffff, v12
	v_sub_nc_u32_e32 v18, 0, v12
	v_add_nc_u32_e32 v14, -1, v14
	v_mul_lo_u32 v15, 0xbc8f, v15
	v_cvt_f32_u32_e32 v14, v14
	v_fma_f32 v14, 0x30000000, v14, 0
	v_cmp_lt_u32_e32 vcc_lo, v15, v12
	v_cndmask_b32_e32 v12, v18, v17, vcc_lo
	v_cmp_gt_f32_e32 vcc_lo, 0xf800000, v13
	v_add_f32_e32 v17, 1.0, v11
	v_add_nc_u32_e32 v12, v12, v15
	v_cndmask_b32_e32 v13, v13, v16, vcc_lo
	v_add_nc_u32_e32 v15, -1, v12
	v_cvt_f32_u32_e32 v15, v15
	v_fma_f32 v15, 0x30000000, v15, 0
	v_mul_f32_e32 v15, v15, v15
	v_fmac_f32_e32 v15, v14, v14
	v_sqrt_f32_e32 v14, v13
	v_mul_f32_e32 v16, 0x4f800000, v15
	v_cmp_gt_f32_e64 s0, 0xf800000, v15
	v_cndmask_b32_e64 v15, v15, v16, s0
	v_add_nc_u32_e32 v16, -1, v14
	v_add_nc_u32_e32 v18, 1, v14
	v_sqrt_f32_e32 v19, v15
	v_fma_f32 v20, -v16, v14, v13
	v_fma_f32 v21, -v18, v14, v13
	v_cmp_ge_f32_e64 s1, 0, v20
	v_cndmask_b32_e64 v14, v14, v16, s1
	v_cmp_lt_f32_e64 s1, 0, v21
	v_add_nc_u32_e32 v16, -1, v19
	v_cndmask_b32_e64 v14, v14, v18, s1
	v_add_nc_u32_e32 v18, 1, v19
	v_fma_f32 v20, -v16, v19, v15
	v_mul_f32_e32 v21, 0x37800000, v14
	v_fma_f32 v22, -v18, v19, v15
	v_cmp_ge_f32_e64 s1, 0, v20
	v_cndmask_b32_e32 v14, v14, v21, vcc_lo
	v_cmp_class_f32_e64 vcc_lo, v13, 0x260
	v_cndmask_b32_e64 v16, v19, v16, s1
	v_cmp_lt_f32_e64 s1, 0, v22
	v_cndmask_b32_e32 v13, v14, v13, vcc_lo
	v_cndmask_b32_e64 v16, v16, v18, s1
	v_cmp_nge_f32_e32 vcc_lo, 1.0, v13
	v_mul_f32_e32 v14, 0x37800000, v16
	v_cndmask_b32_e32 v11, v17, v11, vcc_lo
	v_cmp_class_f32_e64 vcc_lo, v15, 0x260
	v_cndmask_b32_e64 v13, v16, v14, s0
	v_add_f32_e32 v14, 1.0, v11
	v_cndmask_b32_e32 v13, v13, v15, vcc_lo
	v_cmp_nge_f32_e32 vcc_lo, 1.0, v13
	v_cndmask_b32_e32 v11, v14, v11, vcc_lo
	s_cbranch_scc1 .LBB35_24
; %bb.25:
	v_add_nc_u32_e32 v12, 0x7f756716, v6
	s_movk_i32 s2, 0x2710
	v_lshrrev_b32_e32 v13, 19, v12
	v_xor3_b32 v12, v12, v13, 0xc761c23c
	v_lshl_add_u32 v12, v12, 5, v12
	v_add_nc_u32_e32 v13, 0xe9f8cc1d, v12
	v_lshl_add_u32 v12, v12, 9, 0xaccf6200
	v_xor_b32_e32 v12, v13, v12
	v_lshlrev_b32_e32 v13, 3, v12
	v_add3_u32 v12, v12, v13, 0xfd7046c5
	v_lshrrev_b32_e32 v13, 16, v12
	v_xor3_b32 v12, v12, v13, 0xb55a4f09
	v_mul_hi_u32 v13, v12, 3
	v_sub_nc_u32_e32 v14, v12, v13
	v_lshrrev_b32_e32 v14, 1, v14
	v_add_nc_u32_e32 v13, v14, v13
	v_lshrrev_b32_e32 v13, 30, v13
	v_mul_lo_u32 v13, 0x7fffffff, v13
	v_sub_nc_u32_e32 v12, v12, v13
	v_max_u32_e32 v13, 1, v12
	v_mov_b32_e32 v12, 0
.LBB35_26:                              ; =>This Inner Loop Header: Depth=1
	v_mul_hi_u32 v14, 0xbc8f1391, v13
	s_add_i32 s2, s2, -2
	s_cmp_lg_u32 s2, 0
	v_lshrrev_b32_e32 v14, 15, v14
	v_mul_u32_u24_e32 v15, 0xadc8, v14
	v_mul_u32_u24_e32 v14, 0xd47, v14
	v_sub_nc_u32_e32 v13, v13, v15
	v_xor_b32_e32 v15, 0x7fffffff, v14
	v_sub_nc_u32_e32 v16, 0, v14
	v_mul_lo_u32 v13, 0xbc8f, v13
	v_cmp_lt_u32_e32 vcc_lo, v13, v14
	v_cndmask_b32_e32 v14, v16, v15, vcc_lo
	v_add_nc_u32_e32 v13, v14, v13
	v_mul_hi_u32 v14, 0xbc8f1391, v13
	v_lshrrev_b32_e32 v14, 15, v14
	v_mul_u32_u24_e32 v15, 0xadc8, v14
	v_mul_u32_u24_e32 v14, 0xd47, v14
	v_sub_nc_u32_e32 v15, v13, v15
	v_xor_b32_e32 v16, 0x7fffffff, v14
	v_sub_nc_u32_e32 v17, 0, v14
	v_add_nc_u32_e32 v13, -1, v13
	v_mul_lo_u32 v15, 0xbc8f, v15
	v_cvt_f32_u32_e32 v13, v13
	v_cmp_lt_u32_e32 vcc_lo, v15, v14
	v_cndmask_b32_e32 v14, v17, v16, vcc_lo
	v_add_nc_u32_e32 v14, v14, v15
	v_mul_hi_u32 v15, 0xbc8f1391, v14
	v_lshrrev_b32_e32 v15, 15, v15
	v_mul_u32_u24_e32 v16, 0xadc8, v15
	v_mul_u32_u24_e32 v15, 0xd47, v15
	v_sub_nc_u32_e32 v16, v14, v16
	v_xor_b32_e32 v17, 0x7fffffff, v15
	v_sub_nc_u32_e32 v18, 0, v15
	v_add_nc_u32_e32 v14, -1, v14
	v_mul_lo_u32 v16, 0xbc8f, v16
	v_cvt_f32_u32_e32 v14, v14
	v_fma_f32 v14, 0x30000000, v14, 0
	v_cmp_lt_u32_e32 vcc_lo, v16, v15
	v_mul_f32_e32 v14, v14, v14
	v_cndmask_b32_e32 v15, v18, v17, vcc_lo
	v_fma_f32 v17, 0x30000000, v13, 0
	v_add_nc_u32_e32 v15, v15, v16
	v_fmac_f32_e32 v14, v17, v17
	v_mul_hi_u32 v16, 0xbc8f1391, v15
	v_mul_f32_e32 v17, 0x4f800000, v14
	v_lshrrev_b32_e32 v13, 15, v16
	v_mul_u32_u24_e32 v16, 0xadc8, v13
	v_mul_u32_u24_e32 v13, 0xd47, v13
	v_sub_nc_u32_e32 v16, v15, v16
	v_xor_b32_e32 v18, 0x7fffffff, v13
	v_sub_nc_u32_e32 v19, 0, v13
	v_add_nc_u32_e32 v15, -1, v15
	v_mul_lo_u32 v16, 0xbc8f, v16
	v_cvt_f32_u32_e32 v15, v15
	v_fma_f32 v15, 0x30000000, v15, 0
	v_cmp_lt_u32_e32 vcc_lo, v16, v13
	v_cndmask_b32_e32 v13, v19, v18, vcc_lo
	v_cmp_gt_f32_e32 vcc_lo, 0xf800000, v14
	v_add_f32_e32 v18, 1.0, v12
	v_add_nc_u32_e32 v13, v13, v16
	v_cndmask_b32_e32 v14, v14, v17, vcc_lo
	v_add_nc_u32_e32 v16, -1, v13
	v_cvt_f32_u32_e32 v16, v16
	v_fma_f32 v16, 0x30000000, v16, 0
	v_mul_f32_e32 v16, v16, v16
	v_fmac_f32_e32 v16, v15, v15
	v_sqrt_f32_e32 v15, v14
	v_mul_f32_e32 v17, 0x4f800000, v16
	v_cmp_gt_f32_e64 s0, 0xf800000, v16
	v_cndmask_b32_e64 v16, v16, v17, s0
	v_add_nc_u32_e32 v17, -1, v15
	v_add_nc_u32_e32 v19, 1, v15
	v_sqrt_f32_e32 v20, v16
	v_fma_f32 v21, -v17, v15, v14
	v_fma_f32 v22, -v19, v15, v14
	v_cmp_ge_f32_e64 s1, 0, v21
	v_cndmask_b32_e64 v15, v15, v17, s1
	v_cmp_lt_f32_e64 s1, 0, v22
	v_add_nc_u32_e32 v17, -1, v20
	v_cndmask_b32_e64 v15, v15, v19, s1
	v_add_nc_u32_e32 v19, 1, v20
	v_fma_f32 v21, -v17, v20, v16
	v_mul_f32_e32 v22, 0x37800000, v15
	v_fma_f32 v23, -v19, v20, v16
	v_cmp_ge_f32_e64 s1, 0, v21
	v_cndmask_b32_e32 v15, v15, v22, vcc_lo
	v_cmp_class_f32_e64 vcc_lo, v14, 0x260
	v_cndmask_b32_e64 v17, v20, v17, s1
	v_cmp_lt_f32_e64 s1, 0, v23
	v_cndmask_b32_e32 v14, v15, v14, vcc_lo
	v_cndmask_b32_e64 v17, v17, v19, s1
	v_cmp_nge_f32_e32 vcc_lo, 1.0, v14
	v_mul_f32_e32 v15, 0x37800000, v17
	v_cndmask_b32_e32 v12, v18, v12, vcc_lo
	v_cmp_class_f32_e64 vcc_lo, v16, 0x260
	v_cndmask_b32_e64 v14, v17, v15, s0
	v_add_f32_e32 v15, 1.0, v12
	v_cndmask_b32_e32 v14, v14, v16, vcc_lo
	v_cmp_nge_f32_e32 vcc_lo, 1.0, v14
	v_cndmask_b32_e32 v12, v15, v12, vcc_lo
	s_cbranch_scc1 .LBB35_26
; %bb.27:
	v_add_nc_u32_e32 v13, 0x7f856816, v6
	s_movk_i32 s2, 0x2710
	v_lshrrev_b32_e32 v14, 19, v13
	v_xor3_b32 v13, v13, v14, 0xc761c23c
	v_lshl_add_u32 v13, v13, 5, v13
	v_add_nc_u32_e32 v14, 0xe9f8cc1d, v13
	v_lshl_add_u32 v13, v13, 9, 0xaccf6200
	v_xor_b32_e32 v13, v14, v13
	v_lshlrev_b32_e32 v14, 3, v13
	v_add3_u32 v13, v13, v14, 0xfd7046c5
	v_lshrrev_b32_e32 v14, 16, v13
	v_xor3_b32 v13, v13, v14, 0xb55a4f09
	v_mul_hi_u32 v14, v13, 3
	v_sub_nc_u32_e32 v15, v13, v14
	v_lshrrev_b32_e32 v15, 1, v15
	v_add_nc_u32_e32 v14, v15, v14
	v_lshrrev_b32_e32 v14, 30, v14
	v_mul_lo_u32 v14, 0x7fffffff, v14
	v_sub_nc_u32_e32 v13, v13, v14
	v_max_u32_e32 v14, 1, v13
	v_mov_b32_e32 v13, 0
.LBB35_28:                              ; =>This Inner Loop Header: Depth=1
	v_mul_hi_u32 v15, 0xbc8f1391, v14
	s_add_i32 s2, s2, -2
	s_cmp_lg_u32 s2, 0
	v_lshrrev_b32_e32 v15, 15, v15
	v_mul_u32_u24_e32 v16, 0xadc8, v15
	v_mul_u32_u24_e32 v15, 0xd47, v15
	v_sub_nc_u32_e32 v14, v14, v16
	v_xor_b32_e32 v16, 0x7fffffff, v15
	v_sub_nc_u32_e32 v17, 0, v15
	v_mul_lo_u32 v14, 0xbc8f, v14
	v_cmp_lt_u32_e32 vcc_lo, v14, v15
	v_cndmask_b32_e32 v15, v17, v16, vcc_lo
	v_add_nc_u32_e32 v14, v15, v14
	v_mul_hi_u32 v15, 0xbc8f1391, v14
	v_lshrrev_b32_e32 v15, 15, v15
	v_mul_u32_u24_e32 v16, 0xadc8, v15
	v_mul_u32_u24_e32 v15, 0xd47, v15
	v_sub_nc_u32_e32 v16, v14, v16
	v_xor_b32_e32 v17, 0x7fffffff, v15
	v_sub_nc_u32_e32 v18, 0, v15
	v_add_nc_u32_e32 v14, -1, v14
	v_mul_lo_u32 v16, 0xbc8f, v16
	v_cvt_f32_u32_e32 v14, v14
	v_cmp_lt_u32_e32 vcc_lo, v16, v15
	v_cndmask_b32_e32 v15, v18, v17, vcc_lo
	v_add_nc_u32_e32 v15, v15, v16
	v_mul_hi_u32 v16, 0xbc8f1391, v15
	v_lshrrev_b32_e32 v16, 15, v16
	v_mul_u32_u24_e32 v17, 0xadc8, v16
	v_mul_u32_u24_e32 v16, 0xd47, v16
	v_sub_nc_u32_e32 v17, v15, v17
	v_xor_b32_e32 v18, 0x7fffffff, v16
	v_sub_nc_u32_e32 v19, 0, v16
	v_add_nc_u32_e32 v15, -1, v15
	v_mul_lo_u32 v17, 0xbc8f, v17
	v_cvt_f32_u32_e32 v15, v15
	v_fma_f32 v15, 0x30000000, v15, 0
	v_cmp_lt_u32_e32 vcc_lo, v17, v16
	v_mul_f32_e32 v15, v15, v15
	v_cndmask_b32_e32 v16, v19, v18, vcc_lo
	v_fma_f32 v18, 0x30000000, v14, 0
	v_add_nc_u32_e32 v16, v16, v17
	v_fmac_f32_e32 v15, v18, v18
	v_mul_hi_u32 v17, 0xbc8f1391, v16
	v_mul_f32_e32 v18, 0x4f800000, v15
	v_lshrrev_b32_e32 v14, 15, v17
	v_mul_u32_u24_e32 v17, 0xadc8, v14
	v_mul_u32_u24_e32 v14, 0xd47, v14
	v_sub_nc_u32_e32 v17, v16, v17
	v_xor_b32_e32 v19, 0x7fffffff, v14
	v_sub_nc_u32_e32 v20, 0, v14
	v_add_nc_u32_e32 v16, -1, v16
	v_mul_lo_u32 v17, 0xbc8f, v17
	v_cvt_f32_u32_e32 v16, v16
	v_fma_f32 v16, 0x30000000, v16, 0
	v_cmp_lt_u32_e32 vcc_lo, v17, v14
	v_cndmask_b32_e32 v14, v20, v19, vcc_lo
	v_cmp_gt_f32_e32 vcc_lo, 0xf800000, v15
	v_add_f32_e32 v19, 1.0, v13
	v_add_nc_u32_e32 v14, v14, v17
	v_cndmask_b32_e32 v15, v15, v18, vcc_lo
	v_add_nc_u32_e32 v17, -1, v14
	v_cvt_f32_u32_e32 v17, v17
	v_fma_f32 v17, 0x30000000, v17, 0
	v_mul_f32_e32 v17, v17, v17
	v_fmac_f32_e32 v17, v16, v16
	v_sqrt_f32_e32 v16, v15
	v_mul_f32_e32 v18, 0x4f800000, v17
	v_cmp_gt_f32_e64 s0, 0xf800000, v17
	v_cndmask_b32_e64 v17, v17, v18, s0
	v_add_nc_u32_e32 v18, -1, v16
	v_add_nc_u32_e32 v20, 1, v16
	v_sqrt_f32_e32 v21, v17
	v_fma_f32 v22, -v18, v16, v15
	v_fma_f32 v23, -v20, v16, v15
	v_cmp_ge_f32_e64 s1, 0, v22
	v_cndmask_b32_e64 v16, v16, v18, s1
	v_cmp_lt_f32_e64 s1, 0, v23
	v_add_nc_u32_e32 v18, -1, v21
	v_cndmask_b32_e64 v16, v16, v20, s1
	v_add_nc_u32_e32 v20, 1, v21
	v_fma_f32 v22, -v18, v21, v17
	v_mul_f32_e32 v23, 0x37800000, v16
	v_fma_f32 v24, -v20, v21, v17
	v_cmp_ge_f32_e64 s1, 0, v22
	v_cndmask_b32_e32 v16, v16, v23, vcc_lo
	v_cmp_class_f32_e64 vcc_lo, v15, 0x260
	v_cndmask_b32_e64 v18, v21, v18, s1
	v_cmp_lt_f32_e64 s1, 0, v24
	v_cndmask_b32_e32 v15, v16, v15, vcc_lo
	v_cndmask_b32_e64 v18, v18, v20, s1
	v_cmp_nge_f32_e32 vcc_lo, 1.0, v15
	v_mul_f32_e32 v16, 0x37800000, v18
	v_cndmask_b32_e32 v13, v19, v13, vcc_lo
	v_cmp_class_f32_e64 vcc_lo, v17, 0x260
	v_cndmask_b32_e64 v15, v18, v16, s0
	v_add_f32_e32 v16, 1.0, v13
	v_cndmask_b32_e32 v15, v15, v17, vcc_lo
	v_cmp_nge_f32_e32 vcc_lo, 1.0, v15
	v_cndmask_b32_e32 v13, v16, v13, vcc_lo
	s_cbranch_scc1 .LBB35_28
; %bb.29:
	v_add_nc_u32_e32 v14, 0x7f956916, v6
	s_movk_i32 s2, 0x2710
	v_lshrrev_b32_e32 v15, 19, v14
	v_xor3_b32 v14, v14, v15, 0xc761c23c
	v_lshl_add_u32 v14, v14, 5, v14
	v_add_nc_u32_e32 v15, 0xe9f8cc1d, v14
	v_lshl_add_u32 v14, v14, 9, 0xaccf6200
	v_xor_b32_e32 v14, v15, v14
	v_lshlrev_b32_e32 v15, 3, v14
	v_add3_u32 v14, v14, v15, 0xfd7046c5
	v_lshrrev_b32_e32 v15, 16, v14
	v_xor3_b32 v14, v14, v15, 0xb55a4f09
	v_mul_hi_u32 v15, v14, 3
	v_sub_nc_u32_e32 v16, v14, v15
	v_lshrrev_b32_e32 v16, 1, v16
	v_add_nc_u32_e32 v15, v16, v15
	v_lshrrev_b32_e32 v15, 30, v15
	v_mul_lo_u32 v15, 0x7fffffff, v15
	v_sub_nc_u32_e32 v14, v14, v15
	v_max_u32_e32 v15, 1, v14
	v_mov_b32_e32 v14, 0
.LBB35_30:                              ; =>This Inner Loop Header: Depth=1
	v_mul_hi_u32 v16, 0xbc8f1391, v15
	s_add_i32 s2, s2, -2
	s_cmp_lg_u32 s2, 0
	v_lshrrev_b32_e32 v16, 15, v16
	v_mul_u32_u24_e32 v17, 0xadc8, v16
	v_mul_u32_u24_e32 v16, 0xd47, v16
	v_sub_nc_u32_e32 v15, v15, v17
	v_xor_b32_e32 v17, 0x7fffffff, v16
	v_sub_nc_u32_e32 v18, 0, v16
	v_mul_lo_u32 v15, 0xbc8f, v15
	v_cmp_lt_u32_e32 vcc_lo, v15, v16
	v_cndmask_b32_e32 v16, v18, v17, vcc_lo
	v_add_nc_u32_e32 v15, v16, v15
	v_mul_hi_u32 v16, 0xbc8f1391, v15
	v_lshrrev_b32_e32 v16, 15, v16
	v_mul_u32_u24_e32 v17, 0xadc8, v16
	v_mul_u32_u24_e32 v16, 0xd47, v16
	v_sub_nc_u32_e32 v17, v15, v17
	v_xor_b32_e32 v18, 0x7fffffff, v16
	v_sub_nc_u32_e32 v19, 0, v16
	v_add_nc_u32_e32 v15, -1, v15
	v_mul_lo_u32 v17, 0xbc8f, v17
	v_cvt_f32_u32_e32 v15, v15
	v_cmp_lt_u32_e32 vcc_lo, v17, v16
	v_cndmask_b32_e32 v16, v19, v18, vcc_lo
	v_add_nc_u32_e32 v16, v16, v17
	v_mul_hi_u32 v17, 0xbc8f1391, v16
	v_lshrrev_b32_e32 v17, 15, v17
	v_mul_u32_u24_e32 v18, 0xadc8, v17
	v_mul_u32_u24_e32 v17, 0xd47, v17
	v_sub_nc_u32_e32 v18, v16, v18
	v_xor_b32_e32 v19, 0x7fffffff, v17
	v_sub_nc_u32_e32 v20, 0, v17
	v_add_nc_u32_e32 v16, -1, v16
	v_mul_lo_u32 v18, 0xbc8f, v18
	v_cvt_f32_u32_e32 v16, v16
	v_fma_f32 v16, 0x30000000, v16, 0
	v_cmp_lt_u32_e32 vcc_lo, v18, v17
	v_mul_f32_e32 v16, v16, v16
	v_cndmask_b32_e32 v17, v20, v19, vcc_lo
	v_fma_f32 v19, 0x30000000, v15, 0
	v_add_nc_u32_e32 v17, v17, v18
	v_fmac_f32_e32 v16, v19, v19
	v_mul_hi_u32 v18, 0xbc8f1391, v17
	v_mul_f32_e32 v19, 0x4f800000, v16
	v_lshrrev_b32_e32 v15, 15, v18
	v_mul_u32_u24_e32 v18, 0xadc8, v15
	v_mul_u32_u24_e32 v15, 0xd47, v15
	v_sub_nc_u32_e32 v18, v17, v18
	v_xor_b32_e32 v20, 0x7fffffff, v15
	v_sub_nc_u32_e32 v21, 0, v15
	v_add_nc_u32_e32 v17, -1, v17
	v_mul_lo_u32 v18, 0xbc8f, v18
	v_cvt_f32_u32_e32 v17, v17
	v_fma_f32 v17, 0x30000000, v17, 0
	v_cmp_lt_u32_e32 vcc_lo, v18, v15
	v_cndmask_b32_e32 v15, v21, v20, vcc_lo
	v_cmp_gt_f32_e32 vcc_lo, 0xf800000, v16
	v_add_f32_e32 v20, 1.0, v14
	v_add_nc_u32_e32 v15, v15, v18
	v_cndmask_b32_e32 v16, v16, v19, vcc_lo
	v_add_nc_u32_e32 v18, -1, v15
	v_cvt_f32_u32_e32 v18, v18
	v_fma_f32 v18, 0x30000000, v18, 0
	v_mul_f32_e32 v18, v18, v18
	v_fmac_f32_e32 v18, v17, v17
	v_sqrt_f32_e32 v17, v16
	v_mul_f32_e32 v19, 0x4f800000, v18
	v_cmp_gt_f32_e64 s0, 0xf800000, v18
	v_cndmask_b32_e64 v18, v18, v19, s0
	v_add_nc_u32_e32 v19, -1, v17
	v_add_nc_u32_e32 v21, 1, v17
	v_sqrt_f32_e32 v22, v18
	v_fma_f32 v23, -v19, v17, v16
	v_fma_f32 v24, -v21, v17, v16
	v_cmp_ge_f32_e64 s1, 0, v23
	v_cndmask_b32_e64 v17, v17, v19, s1
	v_cmp_lt_f32_e64 s1, 0, v24
	v_add_nc_u32_e32 v19, -1, v22
	v_cndmask_b32_e64 v17, v17, v21, s1
	v_add_nc_u32_e32 v21, 1, v22
	v_fma_f32 v23, -v19, v22, v18
	v_mul_f32_e32 v24, 0x37800000, v17
	v_fma_f32 v25, -v21, v22, v18
	v_cmp_ge_f32_e64 s1, 0, v23
	v_cndmask_b32_e32 v17, v17, v24, vcc_lo
	v_cmp_class_f32_e64 vcc_lo, v16, 0x260
	v_cndmask_b32_e64 v19, v22, v19, s1
	v_cmp_lt_f32_e64 s1, 0, v25
	v_cndmask_b32_e32 v16, v17, v16, vcc_lo
	v_cndmask_b32_e64 v19, v19, v21, s1
	v_cmp_nge_f32_e32 vcc_lo, 1.0, v16
	v_mul_f32_e32 v17, 0x37800000, v19
	v_cndmask_b32_e32 v14, v20, v14, vcc_lo
	v_cmp_class_f32_e64 vcc_lo, v18, 0x260
	v_cndmask_b32_e64 v16, v19, v17, s0
	v_add_f32_e32 v17, 1.0, v14
	v_cndmask_b32_e32 v16, v16, v18, vcc_lo
	v_cmp_nge_f32_e32 vcc_lo, 1.0, v16
	v_cndmask_b32_e32 v14, v17, v14, vcc_lo
	s_cbranch_scc1 .LBB35_30
; %bb.31:
	v_add_nc_u32_e32 v15, 0x7fa56a16, v6
	s_movk_i32 s2, 0x2710
	v_lshrrev_b32_e32 v16, 19, v15
	v_xor3_b32 v15, v15, v16, 0xc761c23c
	v_lshl_add_u32 v15, v15, 5, v15
	v_add_nc_u32_e32 v16, 0xe9f8cc1d, v15
	v_lshl_add_u32 v15, v15, 9, 0xaccf6200
	v_xor_b32_e32 v15, v16, v15
	v_lshlrev_b32_e32 v16, 3, v15
	v_add3_u32 v15, v15, v16, 0xfd7046c5
	v_lshrrev_b32_e32 v16, 16, v15
	v_xor3_b32 v15, v15, v16, 0xb55a4f09
	v_mul_hi_u32 v16, v15, 3
	v_sub_nc_u32_e32 v17, v15, v16
	v_lshrrev_b32_e32 v17, 1, v17
	v_add_nc_u32_e32 v16, v17, v16
	v_lshrrev_b32_e32 v16, 30, v16
	v_mul_lo_u32 v16, 0x7fffffff, v16
	v_sub_nc_u32_e32 v15, v15, v16
	v_max_u32_e32 v16, 1, v15
	v_mov_b32_e32 v15, 0
.LBB35_32:                              ; =>This Inner Loop Header: Depth=1
	v_mul_hi_u32 v17, 0xbc8f1391, v16
	s_add_i32 s2, s2, -2
	s_cmp_lg_u32 s2, 0
	v_lshrrev_b32_e32 v17, 15, v17
	v_mul_u32_u24_e32 v18, 0xadc8, v17
	v_mul_u32_u24_e32 v17, 0xd47, v17
	v_sub_nc_u32_e32 v16, v16, v18
	v_xor_b32_e32 v18, 0x7fffffff, v17
	v_sub_nc_u32_e32 v19, 0, v17
	v_mul_lo_u32 v16, 0xbc8f, v16
	v_cmp_lt_u32_e32 vcc_lo, v16, v17
	v_cndmask_b32_e32 v17, v19, v18, vcc_lo
	v_add_nc_u32_e32 v16, v17, v16
	v_mul_hi_u32 v17, 0xbc8f1391, v16
	v_lshrrev_b32_e32 v17, 15, v17
	v_mul_u32_u24_e32 v18, 0xadc8, v17
	v_mul_u32_u24_e32 v17, 0xd47, v17
	v_sub_nc_u32_e32 v18, v16, v18
	v_xor_b32_e32 v19, 0x7fffffff, v17
	v_sub_nc_u32_e32 v20, 0, v17
	v_add_nc_u32_e32 v16, -1, v16
	v_mul_lo_u32 v18, 0xbc8f, v18
	v_cvt_f32_u32_e32 v16, v16
	v_cmp_lt_u32_e32 vcc_lo, v18, v17
	v_cndmask_b32_e32 v17, v20, v19, vcc_lo
	v_add_nc_u32_e32 v17, v17, v18
	v_mul_hi_u32 v18, 0xbc8f1391, v17
	v_lshrrev_b32_e32 v18, 15, v18
	v_mul_u32_u24_e32 v19, 0xadc8, v18
	v_mul_u32_u24_e32 v18, 0xd47, v18
	v_sub_nc_u32_e32 v19, v17, v19
	v_xor_b32_e32 v20, 0x7fffffff, v18
	v_sub_nc_u32_e32 v21, 0, v18
	v_add_nc_u32_e32 v17, -1, v17
	v_mul_lo_u32 v19, 0xbc8f, v19
	v_cvt_f32_u32_e32 v17, v17
	v_fma_f32 v17, 0x30000000, v17, 0
	v_cmp_lt_u32_e32 vcc_lo, v19, v18
	v_mul_f32_e32 v17, v17, v17
	v_cndmask_b32_e32 v18, v21, v20, vcc_lo
	v_fma_f32 v20, 0x30000000, v16, 0
	v_add_nc_u32_e32 v18, v18, v19
	v_fmac_f32_e32 v17, v20, v20
	v_mul_hi_u32 v19, 0xbc8f1391, v18
	v_mul_f32_e32 v20, 0x4f800000, v17
	v_lshrrev_b32_e32 v16, 15, v19
	v_mul_u32_u24_e32 v19, 0xadc8, v16
	v_mul_u32_u24_e32 v16, 0xd47, v16
	v_sub_nc_u32_e32 v19, v18, v19
	v_xor_b32_e32 v21, 0x7fffffff, v16
	v_sub_nc_u32_e32 v22, 0, v16
	v_add_nc_u32_e32 v18, -1, v18
	v_mul_lo_u32 v19, 0xbc8f, v19
	v_cvt_f32_u32_e32 v18, v18
	v_fma_f32 v18, 0x30000000, v18, 0
	v_cmp_lt_u32_e32 vcc_lo, v19, v16
	v_cndmask_b32_e32 v16, v22, v21, vcc_lo
	v_cmp_gt_f32_e32 vcc_lo, 0xf800000, v17
	v_add_f32_e32 v21, 1.0, v15
	v_add_nc_u32_e32 v16, v16, v19
	v_cndmask_b32_e32 v17, v17, v20, vcc_lo
	v_add_nc_u32_e32 v19, -1, v16
	v_cvt_f32_u32_e32 v19, v19
	v_fma_f32 v19, 0x30000000, v19, 0
	v_mul_f32_e32 v19, v19, v19
	v_fmac_f32_e32 v19, v18, v18
	v_sqrt_f32_e32 v18, v17
	v_mul_f32_e32 v20, 0x4f800000, v19
	v_cmp_gt_f32_e64 s0, 0xf800000, v19
	v_cndmask_b32_e64 v19, v19, v20, s0
	v_add_nc_u32_e32 v20, -1, v18
	v_add_nc_u32_e32 v22, 1, v18
	v_sqrt_f32_e32 v23, v19
	v_fma_f32 v24, -v20, v18, v17
	v_fma_f32 v25, -v22, v18, v17
	v_cmp_ge_f32_e64 s1, 0, v24
	v_cndmask_b32_e64 v18, v18, v20, s1
	v_cmp_lt_f32_e64 s1, 0, v25
	v_add_nc_u32_e32 v20, -1, v23
	v_cndmask_b32_e64 v18, v18, v22, s1
	v_add_nc_u32_e32 v22, 1, v23
	v_fma_f32 v24, -v20, v23, v19
	v_mul_f32_e32 v25, 0x37800000, v18
	v_fma_f32 v26, -v22, v23, v19
	v_cmp_ge_f32_e64 s1, 0, v24
	v_cndmask_b32_e32 v18, v18, v25, vcc_lo
	v_cmp_class_f32_e64 vcc_lo, v17, 0x260
	v_cndmask_b32_e64 v20, v23, v20, s1
	v_cmp_lt_f32_e64 s1, 0, v26
	v_cndmask_b32_e32 v17, v18, v17, vcc_lo
	v_cndmask_b32_e64 v20, v20, v22, s1
	v_cmp_nge_f32_e32 vcc_lo, 1.0, v17
	v_mul_f32_e32 v18, 0x37800000, v20
	v_cndmask_b32_e32 v15, v21, v15, vcc_lo
	v_cmp_class_f32_e64 vcc_lo, v19, 0x260
	v_cndmask_b32_e64 v17, v20, v18, s0
	v_add_f32_e32 v18, 1.0, v15
	v_cndmask_b32_e32 v17, v17, v19, vcc_lo
	v_cmp_nge_f32_e32 vcc_lo, 1.0, v17
	v_cndmask_b32_e32 v15, v18, v15, vcc_lo
	s_cbranch_scc1 .LBB35_32
; %bb.33:
	v_add_nc_u32_e32 v16, 0x7fb56b16, v6
	s_movk_i32 s2, 0x2710
	v_lshrrev_b32_e32 v17, 19, v16
	v_xor3_b32 v16, v16, v17, 0xc761c23c
	v_lshl_add_u32 v16, v16, 5, v16
	v_add_nc_u32_e32 v17, 0xe9f8cc1d, v16
	v_lshl_add_u32 v16, v16, 9, 0xaccf6200
	v_xor_b32_e32 v16, v17, v16
	v_lshlrev_b32_e32 v17, 3, v16
	v_add3_u32 v16, v16, v17, 0xfd7046c5
	v_lshrrev_b32_e32 v17, 16, v16
	v_xor3_b32 v16, v16, v17, 0xb55a4f09
	v_mul_hi_u32 v17, v16, 3
	v_sub_nc_u32_e32 v18, v16, v17
	v_lshrrev_b32_e32 v18, 1, v18
	v_add_nc_u32_e32 v17, v18, v17
	v_lshrrev_b32_e32 v17, 30, v17
	v_mul_lo_u32 v17, 0x7fffffff, v17
	v_sub_nc_u32_e32 v16, v16, v17
	v_max_u32_e32 v17, 1, v16
	v_mov_b32_e32 v16, 0
.LBB35_34:                              ; =>This Inner Loop Header: Depth=1
	v_mul_hi_u32 v18, 0xbc8f1391, v17
	s_add_i32 s2, s2, -2
	s_cmp_lg_u32 s2, 0
	v_lshrrev_b32_e32 v18, 15, v18
	v_mul_u32_u24_e32 v19, 0xadc8, v18
	v_mul_u32_u24_e32 v18, 0xd47, v18
	v_sub_nc_u32_e32 v17, v17, v19
	v_xor_b32_e32 v19, 0x7fffffff, v18
	v_sub_nc_u32_e32 v20, 0, v18
	v_mul_lo_u32 v17, 0xbc8f, v17
	v_cmp_lt_u32_e32 vcc_lo, v17, v18
	v_cndmask_b32_e32 v18, v20, v19, vcc_lo
	v_add_nc_u32_e32 v17, v18, v17
	v_mul_hi_u32 v18, 0xbc8f1391, v17
	v_lshrrev_b32_e32 v18, 15, v18
	v_mul_u32_u24_e32 v19, 0xadc8, v18
	v_mul_u32_u24_e32 v18, 0xd47, v18
	v_sub_nc_u32_e32 v19, v17, v19
	v_xor_b32_e32 v20, 0x7fffffff, v18
	v_sub_nc_u32_e32 v21, 0, v18
	v_add_nc_u32_e32 v17, -1, v17
	v_mul_lo_u32 v19, 0xbc8f, v19
	v_cvt_f32_u32_e32 v17, v17
	v_cmp_lt_u32_e32 vcc_lo, v19, v18
	v_cndmask_b32_e32 v18, v21, v20, vcc_lo
	v_add_nc_u32_e32 v18, v18, v19
	v_mul_hi_u32 v19, 0xbc8f1391, v18
	v_lshrrev_b32_e32 v19, 15, v19
	v_mul_u32_u24_e32 v20, 0xadc8, v19
	v_mul_u32_u24_e32 v19, 0xd47, v19
	v_sub_nc_u32_e32 v20, v18, v20
	v_xor_b32_e32 v21, 0x7fffffff, v19
	v_sub_nc_u32_e32 v22, 0, v19
	v_add_nc_u32_e32 v18, -1, v18
	v_mul_lo_u32 v20, 0xbc8f, v20
	v_cvt_f32_u32_e32 v18, v18
	v_fma_f32 v18, 0x30000000, v18, 0
	v_cmp_lt_u32_e32 vcc_lo, v20, v19
	v_mul_f32_e32 v18, v18, v18
	v_cndmask_b32_e32 v19, v22, v21, vcc_lo
	v_fma_f32 v21, 0x30000000, v17, 0
	v_add_nc_u32_e32 v19, v19, v20
	v_fmac_f32_e32 v18, v21, v21
	v_mul_hi_u32 v20, 0xbc8f1391, v19
	v_mul_f32_e32 v21, 0x4f800000, v18
	v_lshrrev_b32_e32 v17, 15, v20
	v_mul_u32_u24_e32 v20, 0xadc8, v17
	v_mul_u32_u24_e32 v17, 0xd47, v17
	v_sub_nc_u32_e32 v20, v19, v20
	v_xor_b32_e32 v22, 0x7fffffff, v17
	v_sub_nc_u32_e32 v23, 0, v17
	v_add_nc_u32_e32 v19, -1, v19
	v_mul_lo_u32 v20, 0xbc8f, v20
	v_cvt_f32_u32_e32 v19, v19
	v_fma_f32 v19, 0x30000000, v19, 0
	v_cmp_lt_u32_e32 vcc_lo, v20, v17
	v_cndmask_b32_e32 v17, v23, v22, vcc_lo
	v_cmp_gt_f32_e32 vcc_lo, 0xf800000, v18
	v_add_f32_e32 v22, 1.0, v16
	v_add_nc_u32_e32 v17, v17, v20
	v_cndmask_b32_e32 v18, v18, v21, vcc_lo
	v_add_nc_u32_e32 v20, -1, v17
	v_cvt_f32_u32_e32 v20, v20
	v_fma_f32 v20, 0x30000000, v20, 0
	v_mul_f32_e32 v20, v20, v20
	v_fmac_f32_e32 v20, v19, v19
	v_sqrt_f32_e32 v19, v18
	v_mul_f32_e32 v21, 0x4f800000, v20
	v_cmp_gt_f32_e64 s0, 0xf800000, v20
	v_cndmask_b32_e64 v20, v20, v21, s0
	v_add_nc_u32_e32 v21, -1, v19
	v_add_nc_u32_e32 v23, 1, v19
	v_sqrt_f32_e32 v24, v20
	v_fma_f32 v25, -v21, v19, v18
	v_fma_f32 v26, -v23, v19, v18
	v_cmp_ge_f32_e64 s1, 0, v25
	v_cndmask_b32_e64 v19, v19, v21, s1
	v_cmp_lt_f32_e64 s1, 0, v26
	v_add_nc_u32_e32 v21, -1, v24
	v_cndmask_b32_e64 v19, v19, v23, s1
	v_add_nc_u32_e32 v23, 1, v24
	v_fma_f32 v25, -v21, v24, v20
	v_mul_f32_e32 v26, 0x37800000, v19
	v_fma_f32 v27, -v23, v24, v20
	v_cmp_ge_f32_e64 s1, 0, v25
	v_cndmask_b32_e32 v19, v19, v26, vcc_lo
	v_cmp_class_f32_e64 vcc_lo, v18, 0x260
	v_cndmask_b32_e64 v21, v24, v21, s1
	v_cmp_lt_f32_e64 s1, 0, v27
	v_cndmask_b32_e32 v18, v19, v18, vcc_lo
	v_cndmask_b32_e64 v21, v21, v23, s1
	v_cmp_nge_f32_e32 vcc_lo, 1.0, v18
	v_mul_f32_e32 v19, 0x37800000, v21
	v_cndmask_b32_e32 v16, v22, v16, vcc_lo
	v_cmp_class_f32_e64 vcc_lo, v20, 0x260
	v_cndmask_b32_e64 v18, v21, v19, s0
	v_add_f32_e32 v19, 1.0, v16
	v_cndmask_b32_e32 v18, v18, v20, vcc_lo
	v_cmp_nge_f32_e32 vcc_lo, 1.0, v18
	v_cndmask_b32_e32 v16, v19, v16, vcc_lo
	s_cbranch_scc1 .LBB35_34
; %bb.35:
	v_add_nc_u32_e32 v17, 0x7fc56c16, v6
	s_movk_i32 s2, 0x2710
	v_lshrrev_b32_e32 v18, 19, v17
	v_xor3_b32 v17, v17, v18, 0xc761c23c
	v_lshl_add_u32 v17, v17, 5, v17
	v_add_nc_u32_e32 v18, 0xe9f8cc1d, v17
	v_lshl_add_u32 v17, v17, 9, 0xaccf6200
	v_xor_b32_e32 v17, v18, v17
	v_lshlrev_b32_e32 v18, 3, v17
	v_add3_u32 v17, v17, v18, 0xfd7046c5
	v_lshrrev_b32_e32 v18, 16, v17
	v_xor3_b32 v17, v17, v18, 0xb55a4f09
	v_mul_hi_u32 v18, v17, 3
	v_sub_nc_u32_e32 v19, v17, v18
	v_lshrrev_b32_e32 v19, 1, v19
	v_add_nc_u32_e32 v18, v19, v18
	v_lshrrev_b32_e32 v18, 30, v18
	v_mul_lo_u32 v18, 0x7fffffff, v18
	v_sub_nc_u32_e32 v17, v17, v18
	v_max_u32_e32 v18, 1, v17
	v_mov_b32_e32 v17, 0
.LBB35_36:                              ; =>This Inner Loop Header: Depth=1
	v_mul_hi_u32 v19, 0xbc8f1391, v18
	s_add_i32 s2, s2, -2
	s_cmp_lg_u32 s2, 0
	v_lshrrev_b32_e32 v19, 15, v19
	v_mul_u32_u24_e32 v20, 0xadc8, v19
	v_mul_u32_u24_e32 v19, 0xd47, v19
	v_sub_nc_u32_e32 v18, v18, v20
	v_xor_b32_e32 v20, 0x7fffffff, v19
	v_sub_nc_u32_e32 v21, 0, v19
	v_mul_lo_u32 v18, 0xbc8f, v18
	v_cmp_lt_u32_e32 vcc_lo, v18, v19
	v_cndmask_b32_e32 v19, v21, v20, vcc_lo
	v_add_nc_u32_e32 v18, v19, v18
	v_mul_hi_u32 v19, 0xbc8f1391, v18
	v_lshrrev_b32_e32 v19, 15, v19
	v_mul_u32_u24_e32 v20, 0xadc8, v19
	v_mul_u32_u24_e32 v19, 0xd47, v19
	v_sub_nc_u32_e32 v20, v18, v20
	v_xor_b32_e32 v21, 0x7fffffff, v19
	v_sub_nc_u32_e32 v22, 0, v19
	v_add_nc_u32_e32 v18, -1, v18
	v_mul_lo_u32 v20, 0xbc8f, v20
	v_cvt_f32_u32_e32 v18, v18
	v_cmp_lt_u32_e32 vcc_lo, v20, v19
	v_cndmask_b32_e32 v19, v22, v21, vcc_lo
	v_add_nc_u32_e32 v19, v19, v20
	v_mul_hi_u32 v20, 0xbc8f1391, v19
	v_lshrrev_b32_e32 v20, 15, v20
	v_mul_u32_u24_e32 v21, 0xadc8, v20
	v_mul_u32_u24_e32 v20, 0xd47, v20
	v_sub_nc_u32_e32 v21, v19, v21
	v_xor_b32_e32 v22, 0x7fffffff, v20
	v_sub_nc_u32_e32 v23, 0, v20
	v_add_nc_u32_e32 v19, -1, v19
	v_mul_lo_u32 v21, 0xbc8f, v21
	v_cvt_f32_u32_e32 v19, v19
	v_fma_f32 v19, 0x30000000, v19, 0
	v_cmp_lt_u32_e32 vcc_lo, v21, v20
	v_mul_f32_e32 v19, v19, v19
	v_cndmask_b32_e32 v20, v23, v22, vcc_lo
	v_fma_f32 v22, 0x30000000, v18, 0
	v_add_nc_u32_e32 v20, v20, v21
	v_fmac_f32_e32 v19, v22, v22
	v_mul_hi_u32 v21, 0xbc8f1391, v20
	v_mul_f32_e32 v22, 0x4f800000, v19
	v_lshrrev_b32_e32 v18, 15, v21
	v_mul_u32_u24_e32 v21, 0xadc8, v18
	v_mul_u32_u24_e32 v18, 0xd47, v18
	v_sub_nc_u32_e32 v21, v20, v21
	v_xor_b32_e32 v23, 0x7fffffff, v18
	v_sub_nc_u32_e32 v24, 0, v18
	v_add_nc_u32_e32 v20, -1, v20
	v_mul_lo_u32 v21, 0xbc8f, v21
	v_cvt_f32_u32_e32 v20, v20
	v_fma_f32 v20, 0x30000000, v20, 0
	v_cmp_lt_u32_e32 vcc_lo, v21, v18
	v_cndmask_b32_e32 v18, v24, v23, vcc_lo
	v_cmp_gt_f32_e32 vcc_lo, 0xf800000, v19
	v_add_f32_e32 v23, 1.0, v17
	v_add_nc_u32_e32 v18, v18, v21
	v_cndmask_b32_e32 v19, v19, v22, vcc_lo
	v_add_nc_u32_e32 v21, -1, v18
	v_cvt_f32_u32_e32 v21, v21
	v_fma_f32 v21, 0x30000000, v21, 0
	v_mul_f32_e32 v21, v21, v21
	v_fmac_f32_e32 v21, v20, v20
	v_sqrt_f32_e32 v20, v19
	v_mul_f32_e32 v22, 0x4f800000, v21
	v_cmp_gt_f32_e64 s0, 0xf800000, v21
	v_cndmask_b32_e64 v21, v21, v22, s0
	v_add_nc_u32_e32 v22, -1, v20
	v_add_nc_u32_e32 v24, 1, v20
	v_sqrt_f32_e32 v25, v21
	v_fma_f32 v26, -v22, v20, v19
	v_fma_f32 v27, -v24, v20, v19
	v_cmp_ge_f32_e64 s1, 0, v26
	v_cndmask_b32_e64 v20, v20, v22, s1
	v_cmp_lt_f32_e64 s1, 0, v27
	v_add_nc_u32_e32 v22, -1, v25
	v_cndmask_b32_e64 v20, v20, v24, s1
	v_add_nc_u32_e32 v24, 1, v25
	v_fma_f32 v26, -v22, v25, v21
	v_mul_f32_e32 v27, 0x37800000, v20
	v_fma_f32 v28, -v24, v25, v21
	v_cmp_ge_f32_e64 s1, 0, v26
	v_cndmask_b32_e32 v20, v20, v27, vcc_lo
	v_cmp_class_f32_e64 vcc_lo, v19, 0x260
	v_cndmask_b32_e64 v22, v25, v22, s1
	v_cmp_lt_f32_e64 s1, 0, v28
	v_cndmask_b32_e32 v19, v20, v19, vcc_lo
	v_cndmask_b32_e64 v22, v22, v24, s1
	v_cmp_nge_f32_e32 vcc_lo, 1.0, v19
	v_mul_f32_e32 v20, 0x37800000, v22
	v_cndmask_b32_e32 v17, v23, v17, vcc_lo
	v_cmp_class_f32_e64 vcc_lo, v21, 0x260
	v_cndmask_b32_e64 v19, v22, v20, s0
	v_add_f32_e32 v20, 1.0, v17
	v_cndmask_b32_e32 v19, v19, v21, vcc_lo
	v_cmp_nge_f32_e32 vcc_lo, 1.0, v19
	v_cndmask_b32_e32 v17, v20, v17, vcc_lo
	s_cbranch_scc1 .LBB35_36
; %bb.37:
	v_add_nc_u32_e32 v18, 0x7fd56d16, v6
	s_movk_i32 s2, 0x2710
	v_lshrrev_b32_e32 v19, 19, v18
	v_xor3_b32 v18, v18, v19, 0xc761c23c
	v_lshl_add_u32 v18, v18, 5, v18
	v_add_nc_u32_e32 v19, 0xe9f8cc1d, v18
	v_lshl_add_u32 v18, v18, 9, 0xaccf6200
	v_xor_b32_e32 v18, v19, v18
	v_lshlrev_b32_e32 v19, 3, v18
	v_add3_u32 v18, v18, v19, 0xfd7046c5
	v_lshrrev_b32_e32 v19, 16, v18
	v_xor3_b32 v18, v18, v19, 0xb55a4f09
	v_mul_hi_u32 v19, v18, 3
	v_sub_nc_u32_e32 v20, v18, v19
	v_lshrrev_b32_e32 v20, 1, v20
	v_add_nc_u32_e32 v19, v20, v19
	v_lshrrev_b32_e32 v19, 30, v19
	v_mul_lo_u32 v19, 0x7fffffff, v19
	v_sub_nc_u32_e32 v18, v18, v19
	v_max_u32_e32 v19, 1, v18
	v_mov_b32_e32 v18, 0
.LBB35_38:                              ; =>This Inner Loop Header: Depth=1
	v_mul_hi_u32 v20, 0xbc8f1391, v19
	s_add_i32 s2, s2, -2
	s_cmp_lg_u32 s2, 0
	v_lshrrev_b32_e32 v20, 15, v20
	v_mul_u32_u24_e32 v21, 0xadc8, v20
	v_mul_u32_u24_e32 v20, 0xd47, v20
	v_sub_nc_u32_e32 v19, v19, v21
	v_xor_b32_e32 v21, 0x7fffffff, v20
	v_sub_nc_u32_e32 v22, 0, v20
	v_mul_lo_u32 v19, 0xbc8f, v19
	v_cmp_lt_u32_e32 vcc_lo, v19, v20
	v_cndmask_b32_e32 v20, v22, v21, vcc_lo
	v_add_nc_u32_e32 v19, v20, v19
	v_mul_hi_u32 v20, 0xbc8f1391, v19
	v_lshrrev_b32_e32 v20, 15, v20
	v_mul_u32_u24_e32 v21, 0xadc8, v20
	v_mul_u32_u24_e32 v20, 0xd47, v20
	v_sub_nc_u32_e32 v21, v19, v21
	v_xor_b32_e32 v22, 0x7fffffff, v20
	v_sub_nc_u32_e32 v23, 0, v20
	v_add_nc_u32_e32 v19, -1, v19
	v_mul_lo_u32 v21, 0xbc8f, v21
	v_cvt_f32_u32_e32 v19, v19
	v_cmp_lt_u32_e32 vcc_lo, v21, v20
	v_cndmask_b32_e32 v20, v23, v22, vcc_lo
	v_add_nc_u32_e32 v20, v20, v21
	v_mul_hi_u32 v21, 0xbc8f1391, v20
	v_lshrrev_b32_e32 v21, 15, v21
	v_mul_u32_u24_e32 v22, 0xadc8, v21
	v_mul_u32_u24_e32 v21, 0xd47, v21
	v_sub_nc_u32_e32 v22, v20, v22
	v_xor_b32_e32 v23, 0x7fffffff, v21
	v_sub_nc_u32_e32 v24, 0, v21
	v_add_nc_u32_e32 v20, -1, v20
	v_mul_lo_u32 v22, 0xbc8f, v22
	v_cvt_f32_u32_e32 v20, v20
	v_fma_f32 v20, 0x30000000, v20, 0
	v_cmp_lt_u32_e32 vcc_lo, v22, v21
	v_mul_f32_e32 v20, v20, v20
	v_cndmask_b32_e32 v21, v24, v23, vcc_lo
	v_fma_f32 v23, 0x30000000, v19, 0
	v_add_nc_u32_e32 v21, v21, v22
	v_fmac_f32_e32 v20, v23, v23
	v_mul_hi_u32 v22, 0xbc8f1391, v21
	v_mul_f32_e32 v23, 0x4f800000, v20
	v_lshrrev_b32_e32 v19, 15, v22
	v_mul_u32_u24_e32 v22, 0xadc8, v19
	v_mul_u32_u24_e32 v19, 0xd47, v19
	v_sub_nc_u32_e32 v22, v21, v22
	v_xor_b32_e32 v24, 0x7fffffff, v19
	v_sub_nc_u32_e32 v25, 0, v19
	v_add_nc_u32_e32 v21, -1, v21
	v_mul_lo_u32 v22, 0xbc8f, v22
	v_cvt_f32_u32_e32 v21, v21
	v_fma_f32 v21, 0x30000000, v21, 0
	v_cmp_lt_u32_e32 vcc_lo, v22, v19
	v_cndmask_b32_e32 v19, v25, v24, vcc_lo
	v_cmp_gt_f32_e32 vcc_lo, 0xf800000, v20
	v_add_f32_e32 v24, 1.0, v18
	v_add_nc_u32_e32 v19, v19, v22
	v_cndmask_b32_e32 v20, v20, v23, vcc_lo
	v_add_nc_u32_e32 v22, -1, v19
	v_cvt_f32_u32_e32 v22, v22
	v_fma_f32 v22, 0x30000000, v22, 0
	v_mul_f32_e32 v22, v22, v22
	v_fmac_f32_e32 v22, v21, v21
	v_sqrt_f32_e32 v21, v20
	v_mul_f32_e32 v23, 0x4f800000, v22
	v_cmp_gt_f32_e64 s0, 0xf800000, v22
	v_cndmask_b32_e64 v22, v22, v23, s0
	v_add_nc_u32_e32 v23, -1, v21
	v_add_nc_u32_e32 v25, 1, v21
	v_sqrt_f32_e32 v26, v22
	v_fma_f32 v27, -v23, v21, v20
	v_fma_f32 v28, -v25, v21, v20
	v_cmp_ge_f32_e64 s1, 0, v27
	v_cndmask_b32_e64 v21, v21, v23, s1
	v_cmp_lt_f32_e64 s1, 0, v28
	v_add_nc_u32_e32 v23, -1, v26
	v_cndmask_b32_e64 v21, v21, v25, s1
	v_add_nc_u32_e32 v25, 1, v26
	v_fma_f32 v27, -v23, v26, v22
	v_mul_f32_e32 v28, 0x37800000, v21
	v_fma_f32 v29, -v25, v26, v22
	v_cmp_ge_f32_e64 s1, 0, v27
	v_cndmask_b32_e32 v21, v21, v28, vcc_lo
	v_cmp_class_f32_e64 vcc_lo, v20, 0x260
	v_cndmask_b32_e64 v23, v26, v23, s1
	v_cmp_lt_f32_e64 s1, 0, v29
	v_cndmask_b32_e32 v20, v21, v20, vcc_lo
	v_cndmask_b32_e64 v23, v23, v25, s1
	v_cmp_nge_f32_e32 vcc_lo, 1.0, v20
	v_mul_f32_e32 v21, 0x37800000, v23
	v_cndmask_b32_e32 v18, v24, v18, vcc_lo
	v_cmp_class_f32_e64 vcc_lo, v22, 0x260
	v_cndmask_b32_e64 v20, v23, v21, s0
	v_add_f32_e32 v21, 1.0, v18
	v_cndmask_b32_e32 v20, v20, v22, vcc_lo
	v_cmp_nge_f32_e32 vcc_lo, 1.0, v20
	v_cndmask_b32_e32 v18, v21, v18, vcc_lo
	s_cbranch_scc1 .LBB35_38
; %bb.39:
	v_add_nc_u32_e32 v19, 0x7fe56e16, v6
	s_movk_i32 s2, 0x2710
	v_lshrrev_b32_e32 v20, 19, v19
	v_xor3_b32 v19, v19, v20, 0xc761c23c
	v_lshl_add_u32 v19, v19, 5, v19
	v_add_nc_u32_e32 v20, 0xe9f8cc1d, v19
	v_lshl_add_u32 v19, v19, 9, 0xaccf6200
	v_xor_b32_e32 v19, v20, v19
	v_lshlrev_b32_e32 v20, 3, v19
	v_add3_u32 v19, v19, v20, 0xfd7046c5
	v_lshrrev_b32_e32 v20, 16, v19
	v_xor3_b32 v19, v19, v20, 0xb55a4f09
	v_mul_hi_u32 v20, v19, 3
	v_sub_nc_u32_e32 v21, v19, v20
	v_lshrrev_b32_e32 v21, 1, v21
	v_add_nc_u32_e32 v20, v21, v20
	v_lshrrev_b32_e32 v20, 30, v20
	v_mul_lo_u32 v20, 0x7fffffff, v20
	v_sub_nc_u32_e32 v19, v19, v20
	v_max_u32_e32 v20, 1, v19
	v_mov_b32_e32 v19, 0
.LBB35_40:                              ; =>This Inner Loop Header: Depth=1
	v_mul_hi_u32 v21, 0xbc8f1391, v20
	s_add_i32 s2, s2, -2
	s_cmp_lg_u32 s2, 0
	v_lshrrev_b32_e32 v21, 15, v21
	v_mul_u32_u24_e32 v22, 0xadc8, v21
	v_mul_u32_u24_e32 v21, 0xd47, v21
	v_sub_nc_u32_e32 v20, v20, v22
	v_xor_b32_e32 v22, 0x7fffffff, v21
	v_sub_nc_u32_e32 v23, 0, v21
	v_mul_lo_u32 v20, 0xbc8f, v20
	v_cmp_lt_u32_e32 vcc_lo, v20, v21
	v_cndmask_b32_e32 v21, v23, v22, vcc_lo
	v_add_nc_u32_e32 v20, v21, v20
	v_mul_hi_u32 v21, 0xbc8f1391, v20
	v_lshrrev_b32_e32 v21, 15, v21
	v_mul_u32_u24_e32 v22, 0xadc8, v21
	v_mul_u32_u24_e32 v21, 0xd47, v21
	v_sub_nc_u32_e32 v22, v20, v22
	v_xor_b32_e32 v23, 0x7fffffff, v21
	v_sub_nc_u32_e32 v24, 0, v21
	v_add_nc_u32_e32 v20, -1, v20
	v_mul_lo_u32 v22, 0xbc8f, v22
	v_cvt_f32_u32_e32 v20, v20
	v_cmp_lt_u32_e32 vcc_lo, v22, v21
	v_cndmask_b32_e32 v21, v24, v23, vcc_lo
	v_add_nc_u32_e32 v21, v21, v22
	v_mul_hi_u32 v22, 0xbc8f1391, v21
	v_lshrrev_b32_e32 v22, 15, v22
	v_mul_u32_u24_e32 v23, 0xadc8, v22
	v_mul_u32_u24_e32 v22, 0xd47, v22
	v_sub_nc_u32_e32 v23, v21, v23
	v_xor_b32_e32 v24, 0x7fffffff, v22
	v_sub_nc_u32_e32 v25, 0, v22
	v_add_nc_u32_e32 v21, -1, v21
	v_mul_lo_u32 v23, 0xbc8f, v23
	v_cvt_f32_u32_e32 v21, v21
	v_fma_f32 v21, 0x30000000, v21, 0
	v_cmp_lt_u32_e32 vcc_lo, v23, v22
	v_mul_f32_e32 v21, v21, v21
	v_cndmask_b32_e32 v22, v25, v24, vcc_lo
	v_fma_f32 v24, 0x30000000, v20, 0
	v_add_nc_u32_e32 v22, v22, v23
	v_fmac_f32_e32 v21, v24, v24
	v_mul_hi_u32 v23, 0xbc8f1391, v22
	v_mul_f32_e32 v24, 0x4f800000, v21
	v_lshrrev_b32_e32 v20, 15, v23
	v_mul_u32_u24_e32 v23, 0xadc8, v20
	v_mul_u32_u24_e32 v20, 0xd47, v20
	v_sub_nc_u32_e32 v23, v22, v23
	v_xor_b32_e32 v25, 0x7fffffff, v20
	v_sub_nc_u32_e32 v26, 0, v20
	v_add_nc_u32_e32 v22, -1, v22
	v_mul_lo_u32 v23, 0xbc8f, v23
	v_cvt_f32_u32_e32 v22, v22
	v_fma_f32 v22, 0x30000000, v22, 0
	v_cmp_lt_u32_e32 vcc_lo, v23, v20
	v_cndmask_b32_e32 v20, v26, v25, vcc_lo
	v_cmp_gt_f32_e32 vcc_lo, 0xf800000, v21
	v_add_f32_e32 v25, 1.0, v19
	v_add_nc_u32_e32 v20, v20, v23
	v_cndmask_b32_e32 v21, v21, v24, vcc_lo
	v_add_nc_u32_e32 v23, -1, v20
	v_cvt_f32_u32_e32 v23, v23
	v_fma_f32 v23, 0x30000000, v23, 0
	v_mul_f32_e32 v23, v23, v23
	v_fmac_f32_e32 v23, v22, v22
	v_sqrt_f32_e32 v22, v21
	v_mul_f32_e32 v24, 0x4f800000, v23
	v_cmp_gt_f32_e64 s0, 0xf800000, v23
	v_cndmask_b32_e64 v23, v23, v24, s0
	v_add_nc_u32_e32 v24, -1, v22
	v_add_nc_u32_e32 v26, 1, v22
	v_sqrt_f32_e32 v27, v23
	v_fma_f32 v28, -v24, v22, v21
	v_fma_f32 v29, -v26, v22, v21
	v_cmp_ge_f32_e64 s1, 0, v28
	v_cndmask_b32_e64 v22, v22, v24, s1
	v_cmp_lt_f32_e64 s1, 0, v29
	v_add_nc_u32_e32 v24, -1, v27
	v_cndmask_b32_e64 v22, v22, v26, s1
	v_add_nc_u32_e32 v26, 1, v27
	v_fma_f32 v28, -v24, v27, v23
	v_mul_f32_e32 v29, 0x37800000, v22
	v_fma_f32 v30, -v26, v27, v23
	v_cmp_ge_f32_e64 s1, 0, v28
	v_cndmask_b32_e32 v22, v22, v29, vcc_lo
	v_cmp_class_f32_e64 vcc_lo, v21, 0x260
	v_cndmask_b32_e64 v24, v27, v24, s1
	v_cmp_lt_f32_e64 s1, 0, v30
	v_cndmask_b32_e32 v21, v22, v21, vcc_lo
	v_cndmask_b32_e64 v24, v24, v26, s1
	v_cmp_nge_f32_e32 vcc_lo, 1.0, v21
	v_mul_f32_e32 v22, 0x37800000, v24
	v_cndmask_b32_e32 v19, v25, v19, vcc_lo
	v_cmp_class_f32_e64 vcc_lo, v23, 0x260
	v_cndmask_b32_e64 v21, v24, v22, s0
	v_add_f32_e32 v22, 1.0, v19
	v_cndmask_b32_e32 v21, v21, v23, vcc_lo
	v_cmp_nge_f32_e32 vcc_lo, 1.0, v21
	v_cndmask_b32_e32 v19, v22, v19, vcc_lo
	s_cbranch_scc1 .LBB35_40
; %bb.41:
	v_add_nc_u32_e32 v20, 0x7ff56f16, v6
	s_movk_i32 s2, 0x2710
	v_lshrrev_b32_e32 v21, 19, v20
	v_xor3_b32 v20, v20, v21, 0xc761c23c
	v_lshl_add_u32 v20, v20, 5, v20
	v_add_nc_u32_e32 v21, 0xe9f8cc1d, v20
	v_lshl_add_u32 v20, v20, 9, 0xaccf6200
	v_xor_b32_e32 v20, v21, v20
	v_lshlrev_b32_e32 v21, 3, v20
	v_add3_u32 v20, v20, v21, 0xfd7046c5
	v_lshrrev_b32_e32 v21, 16, v20
	v_xor3_b32 v20, v20, v21, 0xb55a4f09
	v_mul_hi_u32 v21, v20, 3
	v_sub_nc_u32_e32 v22, v20, v21
	v_lshrrev_b32_e32 v22, 1, v22
	v_add_nc_u32_e32 v21, v22, v21
	v_lshrrev_b32_e32 v21, 30, v21
	v_mul_lo_u32 v21, 0x7fffffff, v21
	v_sub_nc_u32_e32 v20, v20, v21
	v_max_u32_e32 v21, 1, v20
	v_mov_b32_e32 v20, 0
.LBB35_42:                              ; =>This Inner Loop Header: Depth=1
	v_mul_hi_u32 v22, 0xbc8f1391, v21
	s_add_i32 s2, s2, -2
	s_cmp_lg_u32 s2, 0
	v_lshrrev_b32_e32 v22, 15, v22
	v_mul_u32_u24_e32 v23, 0xadc8, v22
	v_mul_u32_u24_e32 v22, 0xd47, v22
	v_sub_nc_u32_e32 v21, v21, v23
	v_xor_b32_e32 v23, 0x7fffffff, v22
	v_sub_nc_u32_e32 v24, 0, v22
	v_mul_lo_u32 v21, 0xbc8f, v21
	v_cmp_lt_u32_e32 vcc_lo, v21, v22
	v_cndmask_b32_e32 v22, v24, v23, vcc_lo
	v_add_nc_u32_e32 v21, v22, v21
	v_mul_hi_u32 v22, 0xbc8f1391, v21
	v_lshrrev_b32_e32 v22, 15, v22
	v_mul_u32_u24_e32 v23, 0xadc8, v22
	v_mul_u32_u24_e32 v22, 0xd47, v22
	v_sub_nc_u32_e32 v23, v21, v23
	v_xor_b32_e32 v24, 0x7fffffff, v22
	v_sub_nc_u32_e32 v25, 0, v22
	v_add_nc_u32_e32 v21, -1, v21
	v_mul_lo_u32 v23, 0xbc8f, v23
	v_cvt_f32_u32_e32 v21, v21
	v_cmp_lt_u32_e32 vcc_lo, v23, v22
	v_cndmask_b32_e32 v22, v25, v24, vcc_lo
	v_add_nc_u32_e32 v22, v22, v23
	v_mul_hi_u32 v23, 0xbc8f1391, v22
	v_lshrrev_b32_e32 v23, 15, v23
	v_mul_u32_u24_e32 v24, 0xadc8, v23
	v_mul_u32_u24_e32 v23, 0xd47, v23
	v_sub_nc_u32_e32 v24, v22, v24
	v_xor_b32_e32 v25, 0x7fffffff, v23
	v_sub_nc_u32_e32 v26, 0, v23
	v_add_nc_u32_e32 v22, -1, v22
	v_mul_lo_u32 v24, 0xbc8f, v24
	v_cvt_f32_u32_e32 v22, v22
	v_fma_f32 v22, 0x30000000, v22, 0
	v_cmp_lt_u32_e32 vcc_lo, v24, v23
	v_mul_f32_e32 v22, v22, v22
	v_cndmask_b32_e32 v23, v26, v25, vcc_lo
	v_fma_f32 v25, 0x30000000, v21, 0
	v_add_nc_u32_e32 v23, v23, v24
	v_fmac_f32_e32 v22, v25, v25
	v_mul_hi_u32 v24, 0xbc8f1391, v23
	v_mul_f32_e32 v25, 0x4f800000, v22
	v_lshrrev_b32_e32 v21, 15, v24
	v_mul_u32_u24_e32 v24, 0xadc8, v21
	v_mul_u32_u24_e32 v21, 0xd47, v21
	v_sub_nc_u32_e32 v24, v23, v24
	v_xor_b32_e32 v26, 0x7fffffff, v21
	v_sub_nc_u32_e32 v27, 0, v21
	v_add_nc_u32_e32 v23, -1, v23
	v_mul_lo_u32 v24, 0xbc8f, v24
	v_cvt_f32_u32_e32 v23, v23
	v_fma_f32 v23, 0x30000000, v23, 0
	v_cmp_lt_u32_e32 vcc_lo, v24, v21
	v_cndmask_b32_e32 v21, v27, v26, vcc_lo
	v_cmp_gt_f32_e32 vcc_lo, 0xf800000, v22
	v_add_f32_e32 v26, 1.0, v20
	v_add_nc_u32_e32 v21, v21, v24
	v_cndmask_b32_e32 v22, v22, v25, vcc_lo
	v_add_nc_u32_e32 v24, -1, v21
	v_cvt_f32_u32_e32 v24, v24
	v_fma_f32 v24, 0x30000000, v24, 0
	v_mul_f32_e32 v24, v24, v24
	v_fmac_f32_e32 v24, v23, v23
	v_sqrt_f32_e32 v23, v22
	v_mul_f32_e32 v25, 0x4f800000, v24
	v_cmp_gt_f32_e64 s0, 0xf800000, v24
	v_cndmask_b32_e64 v24, v24, v25, s0
	v_add_nc_u32_e32 v25, -1, v23
	v_add_nc_u32_e32 v27, 1, v23
	v_sqrt_f32_e32 v28, v24
	v_fma_f32 v29, -v25, v23, v22
	v_fma_f32 v30, -v27, v23, v22
	v_cmp_ge_f32_e64 s1, 0, v29
	v_cndmask_b32_e64 v23, v23, v25, s1
	v_cmp_lt_f32_e64 s1, 0, v30
	v_add_nc_u32_e32 v25, -1, v28
	v_cndmask_b32_e64 v23, v23, v27, s1
	v_add_nc_u32_e32 v27, 1, v28
	v_fma_f32 v29, -v25, v28, v24
	v_mul_f32_e32 v30, 0x37800000, v23
	v_fma_f32 v31, -v27, v28, v24
	v_cmp_ge_f32_e64 s1, 0, v29
	v_cndmask_b32_e32 v23, v23, v30, vcc_lo
	v_cmp_class_f32_e64 vcc_lo, v22, 0x260
	v_cndmask_b32_e64 v25, v28, v25, s1
	v_cmp_lt_f32_e64 s1, 0, v31
	v_cndmask_b32_e32 v22, v23, v22, vcc_lo
	v_cndmask_b32_e64 v25, v25, v27, s1
	v_cmp_nge_f32_e32 vcc_lo, 1.0, v22
	v_mul_f32_e32 v23, 0x37800000, v25
	v_cndmask_b32_e32 v20, v26, v20, vcc_lo
	v_cmp_class_f32_e64 vcc_lo, v24, 0x260
	v_cndmask_b32_e64 v22, v25, v23, s0
	v_add_f32_e32 v23, 1.0, v20
	v_cndmask_b32_e32 v22, v22, v24, vcc_lo
	v_cmp_nge_f32_e32 vcc_lo, 1.0, v22
	v_cndmask_b32_e32 v20, v23, v20, vcc_lo
	s_cbranch_scc1 .LBB35_42
; %bb.43:
	v_add_nc_u32_e32 v21, 0x80057016, v6
	s_movk_i32 s2, 0x2710
	v_lshrrev_b32_e32 v22, 19, v21
	v_xor3_b32 v21, v21, v22, 0xc761c23c
	v_lshl_add_u32 v21, v21, 5, v21
	v_add_nc_u32_e32 v22, 0xe9f8cc1d, v21
	v_lshl_add_u32 v21, v21, 9, 0xaccf6200
	v_xor_b32_e32 v21, v22, v21
	v_lshlrev_b32_e32 v22, 3, v21
	v_add3_u32 v21, v21, v22, 0xfd7046c5
	v_lshrrev_b32_e32 v22, 16, v21
	v_xor3_b32 v21, v21, v22, 0xb55a4f09
	v_mul_hi_u32 v22, v21, 3
	v_sub_nc_u32_e32 v23, v21, v22
	v_lshrrev_b32_e32 v23, 1, v23
	v_add_nc_u32_e32 v22, v23, v22
	v_lshrrev_b32_e32 v22, 30, v22
	v_mul_lo_u32 v22, 0x7fffffff, v22
	v_sub_nc_u32_e32 v21, v21, v22
	v_max_u32_e32 v22, 1, v21
	v_mov_b32_e32 v21, 0
.LBB35_44:                              ; =>This Inner Loop Header: Depth=1
	v_mul_hi_u32 v23, 0xbc8f1391, v22
	s_add_i32 s2, s2, -2
	s_cmp_lg_u32 s2, 0
	v_lshrrev_b32_e32 v23, 15, v23
	v_mul_u32_u24_e32 v24, 0xadc8, v23
	v_mul_u32_u24_e32 v23, 0xd47, v23
	v_sub_nc_u32_e32 v22, v22, v24
	v_xor_b32_e32 v24, 0x7fffffff, v23
	v_sub_nc_u32_e32 v25, 0, v23
	v_mul_lo_u32 v22, 0xbc8f, v22
	v_cmp_lt_u32_e32 vcc_lo, v22, v23
	v_cndmask_b32_e32 v23, v25, v24, vcc_lo
	v_add_nc_u32_e32 v22, v23, v22
	v_mul_hi_u32 v23, 0xbc8f1391, v22
	v_lshrrev_b32_e32 v23, 15, v23
	v_mul_u32_u24_e32 v24, 0xadc8, v23
	v_mul_u32_u24_e32 v23, 0xd47, v23
	v_sub_nc_u32_e32 v24, v22, v24
	v_xor_b32_e32 v25, 0x7fffffff, v23
	v_sub_nc_u32_e32 v26, 0, v23
	v_add_nc_u32_e32 v22, -1, v22
	v_mul_lo_u32 v24, 0xbc8f, v24
	v_cvt_f32_u32_e32 v22, v22
	v_cmp_lt_u32_e32 vcc_lo, v24, v23
	v_cndmask_b32_e32 v23, v26, v25, vcc_lo
	v_add_nc_u32_e32 v23, v23, v24
	v_mul_hi_u32 v24, 0xbc8f1391, v23
	v_lshrrev_b32_e32 v24, 15, v24
	v_mul_u32_u24_e32 v25, 0xadc8, v24
	v_mul_u32_u24_e32 v24, 0xd47, v24
	v_sub_nc_u32_e32 v25, v23, v25
	v_xor_b32_e32 v26, 0x7fffffff, v24
	v_sub_nc_u32_e32 v27, 0, v24
	v_add_nc_u32_e32 v23, -1, v23
	v_mul_lo_u32 v25, 0xbc8f, v25
	v_cvt_f32_u32_e32 v23, v23
	v_fma_f32 v23, 0x30000000, v23, 0
	v_cmp_lt_u32_e32 vcc_lo, v25, v24
	v_mul_f32_e32 v23, v23, v23
	v_cndmask_b32_e32 v24, v27, v26, vcc_lo
	v_fma_f32 v26, 0x30000000, v22, 0
	v_add_nc_u32_e32 v24, v24, v25
	v_fmac_f32_e32 v23, v26, v26
	v_mul_hi_u32 v25, 0xbc8f1391, v24
	v_mul_f32_e32 v26, 0x4f800000, v23
	v_lshrrev_b32_e32 v22, 15, v25
	v_mul_u32_u24_e32 v25, 0xadc8, v22
	v_mul_u32_u24_e32 v22, 0xd47, v22
	v_sub_nc_u32_e32 v25, v24, v25
	v_xor_b32_e32 v27, 0x7fffffff, v22
	v_sub_nc_u32_e32 v28, 0, v22
	v_add_nc_u32_e32 v24, -1, v24
	v_mul_lo_u32 v25, 0xbc8f, v25
	v_cvt_f32_u32_e32 v24, v24
	v_fma_f32 v24, 0x30000000, v24, 0
	v_cmp_lt_u32_e32 vcc_lo, v25, v22
	v_cndmask_b32_e32 v22, v28, v27, vcc_lo
	v_cmp_gt_f32_e32 vcc_lo, 0xf800000, v23
	v_add_f32_e32 v27, 1.0, v21
	v_add_nc_u32_e32 v22, v22, v25
	v_cndmask_b32_e32 v23, v23, v26, vcc_lo
	v_add_nc_u32_e32 v25, -1, v22
	v_cvt_f32_u32_e32 v25, v25
	v_fma_f32 v25, 0x30000000, v25, 0
	v_mul_f32_e32 v25, v25, v25
	v_fmac_f32_e32 v25, v24, v24
	v_sqrt_f32_e32 v24, v23
	v_mul_f32_e32 v26, 0x4f800000, v25
	v_cmp_gt_f32_e64 s0, 0xf800000, v25
	v_cndmask_b32_e64 v25, v25, v26, s0
	v_add_nc_u32_e32 v26, -1, v24
	v_add_nc_u32_e32 v28, 1, v24
	v_sqrt_f32_e32 v29, v25
	v_fma_f32 v30, -v26, v24, v23
	v_fma_f32 v31, -v28, v24, v23
	v_cmp_ge_f32_e64 s1, 0, v30
	v_cndmask_b32_e64 v24, v24, v26, s1
	v_cmp_lt_f32_e64 s1, 0, v31
	v_add_nc_u32_e32 v26, -1, v29
	v_cndmask_b32_e64 v24, v24, v28, s1
	v_add_nc_u32_e32 v28, 1, v29
	v_fma_f32 v30, -v26, v29, v25
	v_mul_f32_e32 v31, 0x37800000, v24
	v_fma_f32 v32, -v28, v29, v25
	v_cmp_ge_f32_e64 s1, 0, v30
	v_cndmask_b32_e32 v24, v24, v31, vcc_lo
	v_cmp_class_f32_e64 vcc_lo, v23, 0x260
	v_cndmask_b32_e64 v26, v29, v26, s1
	v_cmp_lt_f32_e64 s1, 0, v32
	v_cndmask_b32_e32 v23, v24, v23, vcc_lo
	v_cndmask_b32_e64 v26, v26, v28, s1
	v_cmp_nge_f32_e32 vcc_lo, 1.0, v23
	v_mul_f32_e32 v24, 0x37800000, v26
	v_cndmask_b32_e32 v21, v27, v21, vcc_lo
	v_cmp_class_f32_e64 vcc_lo, v25, 0x260
	v_cndmask_b32_e64 v23, v26, v24, s0
	v_add_f32_e32 v24, 1.0, v21
	v_cndmask_b32_e32 v23, v23, v25, vcc_lo
	v_cmp_nge_f32_e32 vcc_lo, 1.0, v23
	v_cndmask_b32_e32 v21, v24, v21, vcc_lo
	s_cbranch_scc1 .LBB35_44
; %bb.45:
	v_add_nc_u32_e32 v22, 0x80157116, v6
	s_movk_i32 s2, 0x2710
	v_lshrrev_b32_e32 v23, 19, v22
	v_xor3_b32 v22, v22, v23, 0xc761c23c
	v_lshl_add_u32 v22, v22, 5, v22
	v_add_nc_u32_e32 v23, 0xe9f8cc1d, v22
	v_lshl_add_u32 v22, v22, 9, 0xaccf6200
	v_xor_b32_e32 v22, v23, v22
	v_lshlrev_b32_e32 v23, 3, v22
	v_add3_u32 v22, v22, v23, 0xfd7046c5
	v_lshrrev_b32_e32 v23, 16, v22
	v_xor3_b32 v22, v22, v23, 0xb55a4f09
	v_mul_hi_u32 v23, v22, 3
	v_sub_nc_u32_e32 v24, v22, v23
	v_lshrrev_b32_e32 v24, 1, v24
	v_add_nc_u32_e32 v23, v24, v23
	v_lshrrev_b32_e32 v23, 30, v23
	v_mul_lo_u32 v23, 0x7fffffff, v23
	v_sub_nc_u32_e32 v22, v22, v23
	v_max_u32_e32 v23, 1, v22
	v_mov_b32_e32 v22, 0
.LBB35_46:                              ; =>This Inner Loop Header: Depth=1
	v_mul_hi_u32 v24, 0xbc8f1391, v23
	s_add_i32 s2, s2, -2
	s_cmp_lg_u32 s2, 0
	v_lshrrev_b32_e32 v24, 15, v24
	v_mul_u32_u24_e32 v25, 0xadc8, v24
	v_mul_u32_u24_e32 v24, 0xd47, v24
	v_sub_nc_u32_e32 v23, v23, v25
	v_xor_b32_e32 v25, 0x7fffffff, v24
	v_sub_nc_u32_e32 v26, 0, v24
	v_mul_lo_u32 v23, 0xbc8f, v23
	v_cmp_lt_u32_e32 vcc_lo, v23, v24
	v_cndmask_b32_e32 v24, v26, v25, vcc_lo
	v_add_nc_u32_e32 v23, v24, v23
	v_mul_hi_u32 v24, 0xbc8f1391, v23
	v_lshrrev_b32_e32 v24, 15, v24
	v_mul_u32_u24_e32 v25, 0xadc8, v24
	v_mul_u32_u24_e32 v24, 0xd47, v24
	v_sub_nc_u32_e32 v25, v23, v25
	v_xor_b32_e32 v26, 0x7fffffff, v24
	v_sub_nc_u32_e32 v27, 0, v24
	v_add_nc_u32_e32 v23, -1, v23
	v_mul_lo_u32 v25, 0xbc8f, v25
	v_cvt_f32_u32_e32 v23, v23
	v_cmp_lt_u32_e32 vcc_lo, v25, v24
	v_cndmask_b32_e32 v24, v27, v26, vcc_lo
	v_add_nc_u32_e32 v24, v24, v25
	v_mul_hi_u32 v25, 0xbc8f1391, v24
	v_lshrrev_b32_e32 v25, 15, v25
	v_mul_u32_u24_e32 v26, 0xadc8, v25
	v_mul_u32_u24_e32 v25, 0xd47, v25
	v_sub_nc_u32_e32 v26, v24, v26
	v_xor_b32_e32 v27, 0x7fffffff, v25
	v_sub_nc_u32_e32 v28, 0, v25
	v_add_nc_u32_e32 v24, -1, v24
	v_mul_lo_u32 v26, 0xbc8f, v26
	v_cvt_f32_u32_e32 v24, v24
	v_fma_f32 v24, 0x30000000, v24, 0
	v_cmp_lt_u32_e32 vcc_lo, v26, v25
	v_mul_f32_e32 v24, v24, v24
	v_cndmask_b32_e32 v25, v28, v27, vcc_lo
	v_fma_f32 v27, 0x30000000, v23, 0
	v_add_nc_u32_e32 v25, v25, v26
	v_fmac_f32_e32 v24, v27, v27
	v_mul_hi_u32 v26, 0xbc8f1391, v25
	v_mul_f32_e32 v27, 0x4f800000, v24
	v_lshrrev_b32_e32 v23, 15, v26
	v_mul_u32_u24_e32 v26, 0xadc8, v23
	v_mul_u32_u24_e32 v23, 0xd47, v23
	v_sub_nc_u32_e32 v26, v25, v26
	v_xor_b32_e32 v28, 0x7fffffff, v23
	v_sub_nc_u32_e32 v29, 0, v23
	v_add_nc_u32_e32 v25, -1, v25
	v_mul_lo_u32 v26, 0xbc8f, v26
	v_cvt_f32_u32_e32 v25, v25
	v_fma_f32 v25, 0x30000000, v25, 0
	v_cmp_lt_u32_e32 vcc_lo, v26, v23
	v_cndmask_b32_e32 v23, v29, v28, vcc_lo
	v_cmp_gt_f32_e32 vcc_lo, 0xf800000, v24
	v_add_f32_e32 v28, 1.0, v22
	v_add_nc_u32_e32 v23, v23, v26
	v_cndmask_b32_e32 v24, v24, v27, vcc_lo
	v_add_nc_u32_e32 v26, -1, v23
	v_cvt_f32_u32_e32 v26, v26
	v_fma_f32 v26, 0x30000000, v26, 0
	v_mul_f32_e32 v26, v26, v26
	v_fmac_f32_e32 v26, v25, v25
	v_sqrt_f32_e32 v25, v24
	v_mul_f32_e32 v27, 0x4f800000, v26
	v_cmp_gt_f32_e64 s0, 0xf800000, v26
	v_cndmask_b32_e64 v26, v26, v27, s0
	v_add_nc_u32_e32 v27, -1, v25
	v_add_nc_u32_e32 v29, 1, v25
	v_sqrt_f32_e32 v30, v26
	v_fma_f32 v31, -v27, v25, v24
	v_fma_f32 v32, -v29, v25, v24
	v_cmp_ge_f32_e64 s1, 0, v31
	v_cndmask_b32_e64 v25, v25, v27, s1
	v_cmp_lt_f32_e64 s1, 0, v32
	v_add_nc_u32_e32 v27, -1, v30
	v_cndmask_b32_e64 v25, v25, v29, s1
	v_add_nc_u32_e32 v29, 1, v30
	v_fma_f32 v31, -v27, v30, v26
	v_mul_f32_e32 v32, 0x37800000, v25
	v_fma_f32 v33, -v29, v30, v26
	v_cmp_ge_f32_e64 s1, 0, v31
	v_cndmask_b32_e32 v25, v25, v32, vcc_lo
	v_cmp_class_f32_e64 vcc_lo, v24, 0x260
	v_cndmask_b32_e64 v27, v30, v27, s1
	v_cmp_lt_f32_e64 s1, 0, v33
	v_cndmask_b32_e32 v24, v25, v24, vcc_lo
	v_cndmask_b32_e64 v27, v27, v29, s1
	v_cmp_nge_f32_e32 vcc_lo, 1.0, v24
	v_mul_f32_e32 v25, 0x37800000, v27
	v_cndmask_b32_e32 v22, v28, v22, vcc_lo
	v_cmp_class_f32_e64 vcc_lo, v26, 0x260
	v_cndmask_b32_e64 v24, v27, v25, s0
	v_add_f32_e32 v25, 1.0, v22
	v_cndmask_b32_e32 v24, v24, v26, vcc_lo
	v_cmp_nge_f32_e32 vcc_lo, 1.0, v24
	v_cndmask_b32_e32 v22, v25, v22, vcc_lo
	s_cbranch_scc1 .LBB35_46
; %bb.47:
	v_add_nc_u32_e32 v23, 0x80257216, v6
	s_movk_i32 s2, 0x2710
	v_lshrrev_b32_e32 v24, 19, v23
	v_xor3_b32 v23, v23, v24, 0xc761c23c
	v_lshl_add_u32 v23, v23, 5, v23
	v_add_nc_u32_e32 v24, 0xe9f8cc1d, v23
	v_lshl_add_u32 v23, v23, 9, 0xaccf6200
	v_xor_b32_e32 v23, v24, v23
	v_lshlrev_b32_e32 v24, 3, v23
	v_add3_u32 v23, v23, v24, 0xfd7046c5
	v_lshrrev_b32_e32 v24, 16, v23
	v_xor3_b32 v23, v23, v24, 0xb55a4f09
	v_mul_hi_u32 v24, v23, 3
	v_sub_nc_u32_e32 v25, v23, v24
	v_lshrrev_b32_e32 v25, 1, v25
	v_add_nc_u32_e32 v24, v25, v24
	v_lshrrev_b32_e32 v24, 30, v24
	v_mul_lo_u32 v24, 0x7fffffff, v24
	v_sub_nc_u32_e32 v23, v23, v24
	v_max_u32_e32 v24, 1, v23
	v_mov_b32_e32 v23, 0
.LBB35_48:                              ; =>This Inner Loop Header: Depth=1
	v_mul_hi_u32 v25, 0xbc8f1391, v24
	s_add_i32 s2, s2, -2
	s_cmp_lg_u32 s2, 0
	v_lshrrev_b32_e32 v25, 15, v25
	v_mul_u32_u24_e32 v26, 0xadc8, v25
	v_mul_u32_u24_e32 v25, 0xd47, v25
	v_sub_nc_u32_e32 v24, v24, v26
	v_xor_b32_e32 v26, 0x7fffffff, v25
	v_sub_nc_u32_e32 v27, 0, v25
	v_mul_lo_u32 v24, 0xbc8f, v24
	v_cmp_lt_u32_e32 vcc_lo, v24, v25
	v_cndmask_b32_e32 v25, v27, v26, vcc_lo
	v_add_nc_u32_e32 v24, v25, v24
	v_mul_hi_u32 v25, 0xbc8f1391, v24
	v_lshrrev_b32_e32 v25, 15, v25
	v_mul_u32_u24_e32 v26, 0xadc8, v25
	v_mul_u32_u24_e32 v25, 0xd47, v25
	v_sub_nc_u32_e32 v26, v24, v26
	v_xor_b32_e32 v27, 0x7fffffff, v25
	v_sub_nc_u32_e32 v28, 0, v25
	v_add_nc_u32_e32 v24, -1, v24
	v_mul_lo_u32 v26, 0xbc8f, v26
	v_cvt_f32_u32_e32 v24, v24
	v_cmp_lt_u32_e32 vcc_lo, v26, v25
	v_cndmask_b32_e32 v25, v28, v27, vcc_lo
	v_add_nc_u32_e32 v25, v25, v26
	v_mul_hi_u32 v26, 0xbc8f1391, v25
	v_lshrrev_b32_e32 v26, 15, v26
	v_mul_u32_u24_e32 v27, 0xadc8, v26
	v_mul_u32_u24_e32 v26, 0xd47, v26
	v_sub_nc_u32_e32 v27, v25, v27
	v_xor_b32_e32 v28, 0x7fffffff, v26
	v_sub_nc_u32_e32 v29, 0, v26
	v_add_nc_u32_e32 v25, -1, v25
	v_mul_lo_u32 v27, 0xbc8f, v27
	v_cvt_f32_u32_e32 v25, v25
	v_fma_f32 v25, 0x30000000, v25, 0
	v_cmp_lt_u32_e32 vcc_lo, v27, v26
	v_mul_f32_e32 v25, v25, v25
	v_cndmask_b32_e32 v26, v29, v28, vcc_lo
	v_fma_f32 v28, 0x30000000, v24, 0
	v_add_nc_u32_e32 v26, v26, v27
	v_fmac_f32_e32 v25, v28, v28
	v_mul_hi_u32 v27, 0xbc8f1391, v26
	v_mul_f32_e32 v28, 0x4f800000, v25
	v_lshrrev_b32_e32 v24, 15, v27
	v_mul_u32_u24_e32 v27, 0xadc8, v24
	v_mul_u32_u24_e32 v24, 0xd47, v24
	v_sub_nc_u32_e32 v27, v26, v27
	v_xor_b32_e32 v29, 0x7fffffff, v24
	v_sub_nc_u32_e32 v30, 0, v24
	v_add_nc_u32_e32 v26, -1, v26
	v_mul_lo_u32 v27, 0xbc8f, v27
	v_cvt_f32_u32_e32 v26, v26
	v_fma_f32 v26, 0x30000000, v26, 0
	v_cmp_lt_u32_e32 vcc_lo, v27, v24
	v_cndmask_b32_e32 v24, v30, v29, vcc_lo
	v_cmp_gt_f32_e32 vcc_lo, 0xf800000, v25
	v_add_f32_e32 v29, 1.0, v23
	v_add_nc_u32_e32 v24, v24, v27
	v_cndmask_b32_e32 v25, v25, v28, vcc_lo
	v_add_nc_u32_e32 v27, -1, v24
	v_cvt_f32_u32_e32 v27, v27
	v_fma_f32 v27, 0x30000000, v27, 0
	v_mul_f32_e32 v27, v27, v27
	v_fmac_f32_e32 v27, v26, v26
	v_sqrt_f32_e32 v26, v25
	v_mul_f32_e32 v28, 0x4f800000, v27
	v_cmp_gt_f32_e64 s0, 0xf800000, v27
	v_cndmask_b32_e64 v27, v27, v28, s0
	v_add_nc_u32_e32 v28, -1, v26
	v_add_nc_u32_e32 v30, 1, v26
	v_sqrt_f32_e32 v31, v27
	v_fma_f32 v32, -v28, v26, v25
	v_fma_f32 v33, -v30, v26, v25
	v_cmp_ge_f32_e64 s1, 0, v32
	v_cndmask_b32_e64 v26, v26, v28, s1
	v_cmp_lt_f32_e64 s1, 0, v33
	v_add_nc_u32_e32 v28, -1, v31
	v_cndmask_b32_e64 v26, v26, v30, s1
	v_add_nc_u32_e32 v30, 1, v31
	v_fma_f32 v32, -v28, v31, v27
	v_mul_f32_e32 v33, 0x37800000, v26
	v_fma_f32 v34, -v30, v31, v27
	v_cmp_ge_f32_e64 s1, 0, v32
	v_cndmask_b32_e32 v26, v26, v33, vcc_lo
	v_cmp_class_f32_e64 vcc_lo, v25, 0x260
	v_cndmask_b32_e64 v28, v31, v28, s1
	v_cmp_lt_f32_e64 s1, 0, v34
	v_cndmask_b32_e32 v25, v26, v25, vcc_lo
	v_cndmask_b32_e64 v28, v28, v30, s1
	v_cmp_nge_f32_e32 vcc_lo, 1.0, v25
	v_mul_f32_e32 v26, 0x37800000, v28
	v_cndmask_b32_e32 v23, v29, v23, vcc_lo
	v_cmp_class_f32_e64 vcc_lo, v27, 0x260
	v_cndmask_b32_e64 v25, v28, v26, s0
	v_add_f32_e32 v26, 1.0, v23
	v_cndmask_b32_e32 v25, v25, v27, vcc_lo
	v_cmp_nge_f32_e32 vcc_lo, 1.0, v25
	v_cndmask_b32_e32 v23, v26, v23, vcc_lo
	s_cbranch_scc1 .LBB35_48
; %bb.49:
	v_add_nc_u32_e32 v24, 0x80357316, v6
	s_movk_i32 s2, 0x2710
	v_lshrrev_b32_e32 v25, 19, v24
	v_xor3_b32 v24, v24, v25, 0xc761c23c
	v_lshl_add_u32 v24, v24, 5, v24
	v_add_nc_u32_e32 v25, 0xe9f8cc1d, v24
	v_lshl_add_u32 v24, v24, 9, 0xaccf6200
	v_xor_b32_e32 v24, v25, v24
	v_lshlrev_b32_e32 v25, 3, v24
	v_add3_u32 v24, v24, v25, 0xfd7046c5
	v_lshrrev_b32_e32 v25, 16, v24
	v_xor3_b32 v24, v24, v25, 0xb55a4f09
	v_mul_hi_u32 v25, v24, 3
	v_sub_nc_u32_e32 v26, v24, v25
	v_lshrrev_b32_e32 v26, 1, v26
	v_add_nc_u32_e32 v25, v26, v25
	v_lshrrev_b32_e32 v25, 30, v25
	v_mul_lo_u32 v25, 0x7fffffff, v25
	v_sub_nc_u32_e32 v24, v24, v25
	v_mov_b32_e32 v25, 0
	v_max_u32_e32 v24, 1, v24
.LBB35_50:                              ; =>This Inner Loop Header: Depth=1
	v_mul_hi_u32 v26, 0xbc8f1391, v24
	s_add_i32 s2, s2, -2
	s_cmp_lg_u32 s2, 0
	v_lshrrev_b32_e32 v26, 15, v26
	v_mul_u32_u24_e32 v27, 0xadc8, v26
	v_mul_u32_u24_e32 v26, 0xd47, v26
	v_sub_nc_u32_e32 v24, v24, v27
	v_xor_b32_e32 v27, 0x7fffffff, v26
	v_sub_nc_u32_e32 v28, 0, v26
	v_mul_lo_u32 v24, 0xbc8f, v24
	v_cmp_lt_u32_e32 vcc_lo, v24, v26
	v_cndmask_b32_e32 v26, v28, v27, vcc_lo
	v_add_nc_u32_e32 v24, v26, v24
	v_mul_hi_u32 v26, 0xbc8f1391, v24
	v_lshrrev_b32_e32 v26, 15, v26
	v_mul_u32_u24_e32 v27, 0xadc8, v26
	v_mul_u32_u24_e32 v26, 0xd47, v26
	v_sub_nc_u32_e32 v27, v24, v27
	v_xor_b32_e32 v28, 0x7fffffff, v26
	v_sub_nc_u32_e32 v29, 0, v26
	v_add_nc_u32_e32 v24, -1, v24
	v_mul_lo_u32 v27, 0xbc8f, v27
	v_cvt_f32_u32_e32 v24, v24
	v_cmp_lt_u32_e32 vcc_lo, v27, v26
	v_cndmask_b32_e32 v26, v29, v28, vcc_lo
	v_add_nc_u32_e32 v26, v26, v27
	v_mul_hi_u32 v27, 0xbc8f1391, v26
	v_lshrrev_b32_e32 v27, 15, v27
	v_mul_u32_u24_e32 v28, 0xadc8, v27
	v_mul_u32_u24_e32 v27, 0xd47, v27
	v_sub_nc_u32_e32 v28, v26, v28
	v_xor_b32_e32 v29, 0x7fffffff, v27
	v_sub_nc_u32_e32 v30, 0, v27
	v_add_nc_u32_e32 v26, -1, v26
	v_mul_lo_u32 v28, 0xbc8f, v28
	v_cvt_f32_u32_e32 v26, v26
	v_fma_f32 v26, 0x30000000, v26, 0
	v_cmp_lt_u32_e32 vcc_lo, v28, v27
	v_mul_f32_e32 v26, v26, v26
	v_cndmask_b32_e32 v27, v30, v29, vcc_lo
	v_fma_f32 v29, 0x30000000, v24, 0
	v_add_nc_u32_e32 v27, v27, v28
	v_fmac_f32_e32 v26, v29, v29
	v_mul_hi_u32 v28, 0xbc8f1391, v27
	v_mul_f32_e32 v29, 0x4f800000, v26
	v_lshrrev_b32_e32 v24, 15, v28
	v_mul_u32_u24_e32 v28, 0xadc8, v24
	v_mul_u32_u24_e32 v24, 0xd47, v24
	v_sub_nc_u32_e32 v28, v27, v28
	v_xor_b32_e32 v30, 0x7fffffff, v24
	v_sub_nc_u32_e32 v31, 0, v24
	v_add_nc_u32_e32 v27, -1, v27
	v_mul_lo_u32 v28, 0xbc8f, v28
	v_cvt_f32_u32_e32 v27, v27
	v_fma_f32 v27, 0x30000000, v27, 0
	v_cmp_lt_u32_e32 vcc_lo, v28, v24
	v_cndmask_b32_e32 v24, v31, v30, vcc_lo
	v_cmp_gt_f32_e32 vcc_lo, 0xf800000, v26
	v_add_f32_e32 v30, 1.0, v25
	v_add_nc_u32_e32 v24, v24, v28
	v_cndmask_b32_e32 v26, v26, v29, vcc_lo
	v_add_nc_u32_e32 v28, -1, v24
	v_cvt_f32_u32_e32 v28, v28
	v_fma_f32 v28, 0x30000000, v28, 0
	v_mul_f32_e32 v28, v28, v28
	v_fmac_f32_e32 v28, v27, v27
	v_sqrt_f32_e32 v27, v26
	v_mul_f32_e32 v29, 0x4f800000, v28
	v_cmp_gt_f32_e64 s0, 0xf800000, v28
	v_cndmask_b32_e64 v28, v28, v29, s0
	v_add_nc_u32_e32 v29, -1, v27
	v_add_nc_u32_e32 v31, 1, v27
	v_sqrt_f32_e32 v32, v28
	v_fma_f32 v33, -v29, v27, v26
	v_fma_f32 v34, -v31, v27, v26
	v_cmp_ge_f32_e64 s1, 0, v33
	v_cndmask_b32_e64 v27, v27, v29, s1
	v_cmp_lt_f32_e64 s1, 0, v34
	v_add_nc_u32_e32 v29, -1, v32
	v_cndmask_b32_e64 v27, v27, v31, s1
	v_add_nc_u32_e32 v31, 1, v32
	v_fma_f32 v33, -v29, v32, v28
	v_mul_f32_e32 v34, 0x37800000, v27
	v_fma_f32 v35, -v31, v32, v28
	v_cmp_ge_f32_e64 s1, 0, v33
	v_cndmask_b32_e32 v27, v27, v34, vcc_lo
	v_cmp_class_f32_e64 vcc_lo, v26, 0x260
	v_cndmask_b32_e64 v29, v32, v29, s1
	v_cmp_lt_f32_e64 s1, 0, v35
	v_cndmask_b32_e32 v26, v27, v26, vcc_lo
	v_cndmask_b32_e64 v29, v29, v31, s1
	v_cmp_nge_f32_e32 vcc_lo, 1.0, v26
	v_mul_f32_e32 v27, 0x37800000, v29
	v_cndmask_b32_e32 v25, v30, v25, vcc_lo
	v_cmp_class_f32_e64 vcc_lo, v28, 0x260
	v_cndmask_b32_e64 v26, v29, v27, s0
	v_add_f32_e32 v27, 1.0, v25
	v_cndmask_b32_e32 v26, v26, v28, vcc_lo
	v_cmp_nge_f32_e32 vcc_lo, 1.0, v26
	v_cndmask_b32_e32 v25, v27, v25, vcc_lo
	s_cbranch_scc1 .LBB35_50
; %bb.51:
	v_add_nc_u32_e32 v24, 0x80457416, v6
	s_movk_i32 s2, 0x2710
	v_lshrrev_b32_e32 v26, 19, v24
	v_xor3_b32 v24, v24, v26, 0xc761c23c
	v_lshl_add_u32 v24, v24, 5, v24
	v_add_nc_u32_e32 v26, 0xe9f8cc1d, v24
	v_lshl_add_u32 v24, v24, 9, 0xaccf6200
	v_xor_b32_e32 v24, v26, v24
	v_lshlrev_b32_e32 v26, 3, v24
	v_add3_u32 v24, v24, v26, 0xfd7046c5
	v_lshrrev_b32_e32 v26, 16, v24
	v_xor3_b32 v24, v24, v26, 0xb55a4f09
	v_mul_hi_u32 v26, v24, 3
	v_sub_nc_u32_e32 v27, v24, v26
	v_lshrrev_b32_e32 v27, 1, v27
	v_add_nc_u32_e32 v26, v27, v26
	v_mov_b32_e32 v27, 0
	v_lshrrev_b32_e32 v26, 30, v26
	v_mul_lo_u32 v26, 0x7fffffff, v26
	v_sub_nc_u32_e32 v24, v24, v26
	v_max_u32_e32 v24, 1, v24
.LBB35_52:                              ; =>This Inner Loop Header: Depth=1
	v_mul_hi_u32 v26, 0xbc8f1391, v24
	s_add_i32 s2, s2, -2
	s_cmp_lg_u32 s2, 0
	v_lshrrev_b32_e32 v26, 15, v26
	v_mul_u32_u24_e32 v28, 0xadc8, v26
	v_mul_u32_u24_e32 v26, 0xd47, v26
	v_sub_nc_u32_e32 v24, v24, v28
	v_xor_b32_e32 v28, 0x7fffffff, v26
	v_sub_nc_u32_e32 v29, 0, v26
	v_mul_lo_u32 v24, 0xbc8f, v24
	v_cmp_lt_u32_e32 vcc_lo, v24, v26
	v_cndmask_b32_e32 v26, v29, v28, vcc_lo
	v_add_nc_u32_e32 v24, v26, v24
	v_mul_hi_u32 v26, 0xbc8f1391, v24
	v_lshrrev_b32_e32 v26, 15, v26
	v_mul_u32_u24_e32 v28, 0xadc8, v26
	v_mul_u32_u24_e32 v26, 0xd47, v26
	v_sub_nc_u32_e32 v28, v24, v28
	v_xor_b32_e32 v29, 0x7fffffff, v26
	v_sub_nc_u32_e32 v30, 0, v26
	v_add_nc_u32_e32 v24, -1, v24
	v_mul_lo_u32 v28, 0xbc8f, v28
	v_cvt_f32_u32_e32 v24, v24
	v_cmp_lt_u32_e32 vcc_lo, v28, v26
	v_cndmask_b32_e32 v26, v30, v29, vcc_lo
	v_add_nc_u32_e32 v26, v26, v28
	v_mul_hi_u32 v28, 0xbc8f1391, v26
	v_lshrrev_b32_e32 v28, 15, v28
	v_mul_u32_u24_e32 v29, 0xadc8, v28
	v_mul_u32_u24_e32 v28, 0xd47, v28
	v_sub_nc_u32_e32 v29, v26, v29
	v_xor_b32_e32 v30, 0x7fffffff, v28
	v_sub_nc_u32_e32 v31, 0, v28
	v_add_nc_u32_e32 v26, -1, v26
	v_mul_lo_u32 v29, 0xbc8f, v29
	v_cvt_f32_u32_e32 v26, v26
	v_fma_f32 v26, 0x30000000, v26, 0
	v_cmp_lt_u32_e32 vcc_lo, v29, v28
	v_mul_f32_e32 v26, v26, v26
	v_cndmask_b32_e32 v28, v31, v30, vcc_lo
	v_fma_f32 v30, 0x30000000, v24, 0
	v_add_nc_u32_e32 v28, v28, v29
	v_fmac_f32_e32 v26, v30, v30
	v_mul_hi_u32 v29, 0xbc8f1391, v28
	v_mul_f32_e32 v30, 0x4f800000, v26
	v_lshrrev_b32_e32 v24, 15, v29
	v_mul_u32_u24_e32 v29, 0xadc8, v24
	v_mul_u32_u24_e32 v24, 0xd47, v24
	v_sub_nc_u32_e32 v29, v28, v29
	v_xor_b32_e32 v31, 0x7fffffff, v24
	v_sub_nc_u32_e32 v32, 0, v24
	v_add_nc_u32_e32 v28, -1, v28
	v_mul_lo_u32 v29, 0xbc8f, v29
	v_cvt_f32_u32_e32 v28, v28
	v_fma_f32 v28, 0x30000000, v28, 0
	v_cmp_lt_u32_e32 vcc_lo, v29, v24
	v_cndmask_b32_e32 v24, v32, v31, vcc_lo
	v_cmp_gt_f32_e32 vcc_lo, 0xf800000, v26
	v_add_f32_e32 v31, 1.0, v27
	v_add_nc_u32_e32 v24, v24, v29
	v_cndmask_b32_e32 v26, v26, v30, vcc_lo
	v_add_nc_u32_e32 v29, -1, v24
	v_cvt_f32_u32_e32 v29, v29
	v_fma_f32 v29, 0x30000000, v29, 0
	v_mul_f32_e32 v29, v29, v29
	v_fmac_f32_e32 v29, v28, v28
	v_sqrt_f32_e32 v28, v26
	v_mul_f32_e32 v30, 0x4f800000, v29
	v_cmp_gt_f32_e64 s0, 0xf800000, v29
	v_cndmask_b32_e64 v29, v29, v30, s0
	v_add_nc_u32_e32 v30, -1, v28
	v_add_nc_u32_e32 v32, 1, v28
	v_sqrt_f32_e32 v33, v29
	v_fma_f32 v34, -v30, v28, v26
	v_fma_f32 v35, -v32, v28, v26
	v_cmp_ge_f32_e64 s1, 0, v34
	v_cndmask_b32_e64 v28, v28, v30, s1
	v_cmp_lt_f32_e64 s1, 0, v35
	v_add_nc_u32_e32 v30, -1, v33
	v_cndmask_b32_e64 v28, v28, v32, s1
	v_add_nc_u32_e32 v32, 1, v33
	v_fma_f32 v34, -v30, v33, v29
	v_mul_f32_e32 v35, 0x37800000, v28
	v_fma_f32 v36, -v32, v33, v29
	v_cmp_ge_f32_e64 s1, 0, v34
	v_cndmask_b32_e32 v28, v28, v35, vcc_lo
	v_cmp_class_f32_e64 vcc_lo, v26, 0x260
	v_cndmask_b32_e64 v30, v33, v30, s1
	v_cmp_lt_f32_e64 s1, 0, v36
	v_cndmask_b32_e32 v26, v28, v26, vcc_lo
	v_cndmask_b32_e64 v30, v30, v32, s1
	v_cmp_nge_f32_e32 vcc_lo, 1.0, v26
	v_mul_f32_e32 v28, 0x37800000, v30
	v_cndmask_b32_e32 v26, v31, v27, vcc_lo
	v_cmp_class_f32_e64 vcc_lo, v29, 0x260
	v_cndmask_b32_e64 v27, v30, v28, s0
	v_add_f32_e32 v28, 1.0, v26
	v_cndmask_b32_e32 v27, v27, v29, vcc_lo
	v_cmp_nge_f32_e32 vcc_lo, 1.0, v27
	v_cndmask_b32_e32 v27, v28, v26, vcc_lo
	s_cbranch_scc1 .LBB35_52
; %bb.53:
	v_add_nc_u32_e32 v24, 0x80557516, v6
	v_mov_b32_e32 v30, 0
	s_movk_i32 s2, 0x2710
	v_lshrrev_b32_e32 v26, 19, v24
	v_xor3_b32 v24, v24, v26, 0xc761c23c
	v_lshl_add_u32 v24, v24, 5, v24
	v_add_nc_u32_e32 v26, 0xe9f8cc1d, v24
	v_lshl_add_u32 v24, v24, 9, 0xaccf6200
	v_xor_b32_e32 v24, v26, v24
	v_lshlrev_b32_e32 v26, 3, v24
	v_add3_u32 v24, v24, v26, 0xfd7046c5
	v_lshrrev_b32_e32 v26, 16, v24
	v_xor3_b32 v24, v24, v26, 0xb55a4f09
	v_mul_hi_u32 v26, v24, 3
	v_sub_nc_u32_e32 v28, v24, v26
	v_lshrrev_b32_e32 v28, 1, v28
	v_add_nc_u32_e32 v26, v28, v26
	v_lshrrev_b32_e32 v26, 30, v26
	v_mul_lo_u32 v26, 0x7fffffff, v26
	v_sub_nc_u32_e32 v24, v24, v26
	v_max_u32_e32 v24, 1, v24
.LBB35_54:                              ; =>This Inner Loop Header: Depth=1
	v_mul_hi_u32 v26, 0xbc8f1391, v24
	s_add_i32 s2, s2, -2
	s_cmp_lg_u32 s2, 0
	v_lshrrev_b32_e32 v26, 15, v26
	v_mul_u32_u24_e32 v28, 0xadc8, v26
	v_mul_u32_u24_e32 v26, 0xd47, v26
	v_sub_nc_u32_e32 v24, v24, v28
	v_xor_b32_e32 v28, 0x7fffffff, v26
	v_sub_nc_u32_e32 v29, 0, v26
	v_mul_lo_u32 v24, 0xbc8f, v24
	v_cmp_lt_u32_e32 vcc_lo, v24, v26
	v_cndmask_b32_e32 v26, v29, v28, vcc_lo
	v_add_nc_u32_e32 v24, v26, v24
	v_mul_hi_u32 v26, 0xbc8f1391, v24
	v_lshrrev_b32_e32 v26, 15, v26
	v_mul_u32_u24_e32 v28, 0xadc8, v26
	v_mul_u32_u24_e32 v26, 0xd47, v26
	v_sub_nc_u32_e32 v28, v24, v28
	v_xor_b32_e32 v29, 0x7fffffff, v26
	v_sub_nc_u32_e32 v31, 0, v26
	v_add_nc_u32_e32 v24, -1, v24
	v_mul_lo_u32 v28, 0xbc8f, v28
	v_cvt_f32_u32_e32 v24, v24
	v_cmp_lt_u32_e32 vcc_lo, v28, v26
	v_cndmask_b32_e32 v26, v31, v29, vcc_lo
	v_add_nc_u32_e32 v26, v26, v28
	v_mul_hi_u32 v28, 0xbc8f1391, v26
	v_lshrrev_b32_e32 v28, 15, v28
	v_mul_u32_u24_e32 v29, 0xadc8, v28
	v_mul_u32_u24_e32 v28, 0xd47, v28
	v_sub_nc_u32_e32 v29, v26, v29
	v_xor_b32_e32 v31, 0x7fffffff, v28
	v_sub_nc_u32_e32 v32, 0, v28
	v_add_nc_u32_e32 v26, -1, v26
	v_mul_lo_u32 v29, 0xbc8f, v29
	v_cvt_f32_u32_e32 v26, v26
	v_fma_f32 v26, 0x30000000, v26, 0
	v_cmp_lt_u32_e32 vcc_lo, v29, v28
	v_mul_f32_e32 v26, v26, v26
	v_cndmask_b32_e32 v28, v32, v31, vcc_lo
	v_fma_f32 v31, 0x30000000, v24, 0
	v_add_nc_u32_e32 v28, v28, v29
	v_fmac_f32_e32 v26, v31, v31
	v_mul_hi_u32 v29, 0xbc8f1391, v28
	v_mul_f32_e32 v31, 0x4f800000, v26
	v_lshrrev_b32_e32 v24, 15, v29
	v_mul_u32_u24_e32 v29, 0xadc8, v24
	v_mul_u32_u24_e32 v24, 0xd47, v24
	v_sub_nc_u32_e32 v29, v28, v29
	v_xor_b32_e32 v32, 0x7fffffff, v24
	v_sub_nc_u32_e32 v33, 0, v24
	v_add_nc_u32_e32 v28, -1, v28
	v_mul_lo_u32 v29, 0xbc8f, v29
	v_cvt_f32_u32_e32 v28, v28
	v_fma_f32 v28, 0x30000000, v28, 0
	v_cmp_lt_u32_e32 vcc_lo, v29, v24
	v_cndmask_b32_e32 v24, v33, v32, vcc_lo
	v_cmp_gt_f32_e32 vcc_lo, 0xf800000, v26
	v_add_f32_e32 v32, 1.0, v30
	v_add_nc_u32_e32 v24, v24, v29
	v_cndmask_b32_e32 v26, v26, v31, vcc_lo
	v_add_nc_u32_e32 v29, -1, v24
	v_cvt_f32_u32_e32 v29, v29
	v_fma_f32 v29, 0x30000000, v29, 0
	v_mul_f32_e32 v29, v29, v29
	v_fmac_f32_e32 v29, v28, v28
	v_sqrt_f32_e32 v28, v26
	v_mul_f32_e32 v31, 0x4f800000, v29
	v_cmp_gt_f32_e64 s0, 0xf800000, v29
	v_cndmask_b32_e64 v29, v29, v31, s0
	v_add_nc_u32_e32 v31, -1, v28
	v_add_nc_u32_e32 v33, 1, v28
	v_sqrt_f32_e32 v34, v29
	v_fma_f32 v35, -v31, v28, v26
	v_fma_f32 v36, -v33, v28, v26
	v_cmp_ge_f32_e64 s1, 0, v35
	v_cndmask_b32_e64 v28, v28, v31, s1
	v_cmp_lt_f32_e64 s1, 0, v36
	v_add_nc_u32_e32 v31, -1, v34
	v_cndmask_b32_e64 v28, v28, v33, s1
	v_add_nc_u32_e32 v33, 1, v34
	v_fma_f32 v35, -v31, v34, v29
	v_mul_f32_e32 v36, 0x37800000, v28
	v_fma_f32 v37, -v33, v34, v29
	v_cmp_ge_f32_e64 s1, 0, v35
	v_cndmask_b32_e32 v28, v28, v36, vcc_lo
	v_cmp_class_f32_e64 vcc_lo, v26, 0x260
	v_cndmask_b32_e64 v31, v34, v31, s1
	v_cmp_lt_f32_e64 s1, 0, v37
	v_cndmask_b32_e32 v26, v28, v26, vcc_lo
	v_cndmask_b32_e64 v31, v31, v33, s1
	v_cmp_nge_f32_e32 vcc_lo, 1.0, v26
	v_mul_f32_e32 v28, 0x37800000, v31
	v_cndmask_b32_e32 v26, v32, v30, vcc_lo
	v_cmp_class_f32_e64 vcc_lo, v29, 0x260
	v_cndmask_b32_e64 v28, v31, v28, s0
	v_add_f32_e32 v30, 1.0, v26
	v_cndmask_b32_e32 v28, v28, v29, vcc_lo
	v_cmp_nge_f32_e32 vcc_lo, 1.0, v28
	v_cndmask_b32_e32 v30, v30, v26, vcc_lo
	s_cbranch_scc1 .LBB35_54
; %bb.55:
	v_add_nc_u32_e32 v24, 0x80657616, v6
	s_movk_i32 s2, 0x2710
	v_lshrrev_b32_e32 v26, 19, v24
	v_xor3_b32 v24, v24, v26, 0xc761c23c
	v_lshl_add_u32 v24, v24, 5, v24
	v_add_nc_u32_e32 v26, 0xe9f8cc1d, v24
	v_lshl_add_u32 v24, v24, 9, 0xaccf6200
	v_xor_b32_e32 v24, v26, v24
	v_lshlrev_b32_e32 v26, 3, v24
	v_add3_u32 v24, v24, v26, 0xfd7046c5
	v_lshrrev_b32_e32 v26, 16, v24
	v_xor3_b32 v24, v24, v26, 0xb55a4f09
	v_mul_hi_u32 v26, v24, 3
	v_sub_nc_u32_e32 v28, v24, v26
	v_lshrrev_b32_e32 v28, 1, v28
	v_add_nc_u32_e32 v26, v28, v26
	v_lshrrev_b32_e32 v26, 30, v26
	v_mul_lo_u32 v26, 0x7fffffff, v26
	v_sub_nc_u32_e32 v24, v24, v26
	v_max_u32_e32 v26, 1, v24
	v_mov_b32_e32 v24, 0
.LBB35_56:                              ; =>This Inner Loop Header: Depth=1
	v_mul_hi_u32 v28, 0xbc8f1391, v26
	s_add_i32 s2, s2, -2
	s_cmp_lg_u32 s2, 0
	v_lshrrev_b32_e32 v28, 15, v28
	v_mul_u32_u24_e32 v29, 0xadc8, v28
	v_mul_u32_u24_e32 v28, 0xd47, v28
	v_sub_nc_u32_e32 v26, v26, v29
	v_xor_b32_e32 v29, 0x7fffffff, v28
	v_sub_nc_u32_e32 v31, 0, v28
	v_mul_lo_u32 v26, 0xbc8f, v26
	v_cmp_lt_u32_e32 vcc_lo, v26, v28
	v_cndmask_b32_e32 v28, v31, v29, vcc_lo
	v_add_nc_u32_e32 v26, v28, v26
	v_mul_hi_u32 v28, 0xbc8f1391, v26
	v_lshrrev_b32_e32 v28, 15, v28
	v_mul_u32_u24_e32 v29, 0xadc8, v28
	v_mul_u32_u24_e32 v28, 0xd47, v28
	v_sub_nc_u32_e32 v29, v26, v29
	v_xor_b32_e32 v31, 0x7fffffff, v28
	v_sub_nc_u32_e32 v32, 0, v28
	v_add_nc_u32_e32 v26, -1, v26
	v_mul_lo_u32 v29, 0xbc8f, v29
	v_cvt_f32_u32_e32 v26, v26
	v_cmp_lt_u32_e32 vcc_lo, v29, v28
	v_cndmask_b32_e32 v28, v32, v31, vcc_lo
	v_add_nc_u32_e32 v28, v28, v29
	v_mul_hi_u32 v29, 0xbc8f1391, v28
	v_lshrrev_b32_e32 v29, 15, v29
	v_mul_u32_u24_e32 v31, 0xadc8, v29
	v_mul_u32_u24_e32 v29, 0xd47, v29
	v_sub_nc_u32_e32 v31, v28, v31
	v_xor_b32_e32 v32, 0x7fffffff, v29
	v_sub_nc_u32_e32 v33, 0, v29
	v_add_nc_u32_e32 v28, -1, v28
	v_mul_lo_u32 v31, 0xbc8f, v31
	v_cvt_f32_u32_e32 v28, v28
	v_fma_f32 v28, 0x30000000, v28, 0
	v_cmp_lt_u32_e32 vcc_lo, v31, v29
	v_mul_f32_e32 v28, v28, v28
	v_cndmask_b32_e32 v29, v33, v32, vcc_lo
	v_fma_f32 v32, 0x30000000, v26, 0
	v_add_nc_u32_e32 v29, v29, v31
	v_fmac_f32_e32 v28, v32, v32
	v_mul_hi_u32 v31, 0xbc8f1391, v29
	v_mul_f32_e32 v32, 0x4f800000, v28
	v_lshrrev_b32_e32 v26, 15, v31
	v_mul_u32_u24_e32 v31, 0xadc8, v26
	v_mul_u32_u24_e32 v26, 0xd47, v26
	v_sub_nc_u32_e32 v31, v29, v31
	v_xor_b32_e32 v33, 0x7fffffff, v26
	v_sub_nc_u32_e32 v34, 0, v26
	v_add_nc_u32_e32 v29, -1, v29
	v_mul_lo_u32 v31, 0xbc8f, v31
	v_cvt_f32_u32_e32 v29, v29
	v_fma_f32 v29, 0x30000000, v29, 0
	v_cmp_lt_u32_e32 vcc_lo, v31, v26
	v_cndmask_b32_e32 v26, v34, v33, vcc_lo
	v_cmp_gt_f32_e32 vcc_lo, 0xf800000, v28
	v_add_f32_e32 v33, 1.0, v24
	v_add_nc_u32_e32 v26, v26, v31
	v_cndmask_b32_e32 v28, v28, v32, vcc_lo
	v_add_nc_u32_e32 v31, -1, v26
	v_cvt_f32_u32_e32 v31, v31
	v_fma_f32 v31, 0x30000000, v31, 0
	v_mul_f32_e32 v31, v31, v31
	v_fmac_f32_e32 v31, v29, v29
	v_sqrt_f32_e32 v29, v28
	v_mul_f32_e32 v32, 0x4f800000, v31
	v_cmp_gt_f32_e64 s0, 0xf800000, v31
	v_cndmask_b32_e64 v31, v31, v32, s0
	v_add_nc_u32_e32 v32, -1, v29
	v_add_nc_u32_e32 v34, 1, v29
	v_sqrt_f32_e32 v35, v31
	v_fma_f32 v36, -v32, v29, v28
	v_fma_f32 v37, -v34, v29, v28
	v_cmp_ge_f32_e64 s1, 0, v36
	v_cndmask_b32_e64 v29, v29, v32, s1
	v_cmp_lt_f32_e64 s1, 0, v37
	v_add_nc_u32_e32 v32, -1, v35
	v_cndmask_b32_e64 v29, v29, v34, s1
	v_add_nc_u32_e32 v34, 1, v35
	v_fma_f32 v36, -v32, v35, v31
	v_mul_f32_e32 v37, 0x37800000, v29
	v_fma_f32 v38, -v34, v35, v31
	v_cmp_ge_f32_e64 s1, 0, v36
	v_cndmask_b32_e32 v29, v29, v37, vcc_lo
	v_cmp_class_f32_e64 vcc_lo, v28, 0x260
	v_cndmask_b32_e64 v32, v35, v32, s1
	v_cmp_lt_f32_e64 s1, 0, v38
	v_cndmask_b32_e32 v28, v29, v28, vcc_lo
	v_cndmask_b32_e64 v32, v32, v34, s1
	v_cmp_nge_f32_e32 vcc_lo, 1.0, v28
	v_mul_f32_e32 v29, 0x37800000, v32
	v_cndmask_b32_e32 v24, v33, v24, vcc_lo
	v_cmp_class_f32_e64 vcc_lo, v31, 0x260
	v_cndmask_b32_e64 v28, v32, v29, s0
	v_add_f32_e32 v29, 1.0, v24
	v_cndmask_b32_e32 v28, v28, v31, vcc_lo
	v_cmp_nge_f32_e32 vcc_lo, 1.0, v28
	v_cndmask_b32_e32 v24, v29, v24, vcc_lo
	s_cbranch_scc1 .LBB35_56
; %bb.57:
	v_add_nc_u32_e32 v26, 0x80757716, v6
	s_movk_i32 s2, 0x2710
	v_lshrrev_b32_e32 v28, 19, v26
	v_xor3_b32 v26, v26, v28, 0xc761c23c
	v_lshl_add_u32 v26, v26, 5, v26
	v_add_nc_u32_e32 v28, 0xe9f8cc1d, v26
	v_lshl_add_u32 v26, v26, 9, 0xaccf6200
	v_xor_b32_e32 v26, v28, v26
	v_lshlrev_b32_e32 v28, 3, v26
	v_add3_u32 v26, v26, v28, 0xfd7046c5
	v_lshrrev_b32_e32 v28, 16, v26
	v_xor3_b32 v26, v26, v28, 0xb55a4f09
	v_mul_hi_u32 v28, v26, 3
	v_sub_nc_u32_e32 v29, v26, v28
	v_lshrrev_b32_e32 v29, 1, v29
	v_add_nc_u32_e32 v28, v29, v28
	v_lshrrev_b32_e32 v28, 30, v28
	v_mul_lo_u32 v28, 0x7fffffff, v28
	v_sub_nc_u32_e32 v26, v26, v28
	v_max_u32_e32 v28, 1, v26
	v_mov_b32_e32 v26, 0
.LBB35_58:                              ; =>This Inner Loop Header: Depth=1
	v_mul_hi_u32 v29, 0xbc8f1391, v28
	s_add_i32 s2, s2, -2
	s_cmp_lg_u32 s2, 0
	v_lshrrev_b32_e32 v29, 15, v29
	v_mul_u32_u24_e32 v31, 0xadc8, v29
	v_mul_u32_u24_e32 v29, 0xd47, v29
	v_sub_nc_u32_e32 v28, v28, v31
	v_xor_b32_e32 v31, 0x7fffffff, v29
	v_sub_nc_u32_e32 v32, 0, v29
	v_mul_lo_u32 v28, 0xbc8f, v28
	v_cmp_lt_u32_e32 vcc_lo, v28, v29
	v_cndmask_b32_e32 v29, v32, v31, vcc_lo
	v_add_nc_u32_e32 v28, v29, v28
	v_mul_hi_u32 v29, 0xbc8f1391, v28
	v_lshrrev_b32_e32 v29, 15, v29
	v_mul_u32_u24_e32 v31, 0xadc8, v29
	v_mul_u32_u24_e32 v29, 0xd47, v29
	v_sub_nc_u32_e32 v31, v28, v31
	v_xor_b32_e32 v32, 0x7fffffff, v29
	v_sub_nc_u32_e32 v33, 0, v29
	v_add_nc_u32_e32 v28, -1, v28
	v_mul_lo_u32 v31, 0xbc8f, v31
	v_cvt_f32_u32_e32 v28, v28
	v_cmp_lt_u32_e32 vcc_lo, v31, v29
	v_cndmask_b32_e32 v29, v33, v32, vcc_lo
	v_add_nc_u32_e32 v29, v29, v31
	v_mul_hi_u32 v31, 0xbc8f1391, v29
	v_lshrrev_b32_e32 v31, 15, v31
	v_mul_u32_u24_e32 v32, 0xadc8, v31
	v_mul_u32_u24_e32 v31, 0xd47, v31
	v_sub_nc_u32_e32 v32, v29, v32
	v_xor_b32_e32 v33, 0x7fffffff, v31
	v_sub_nc_u32_e32 v34, 0, v31
	v_add_nc_u32_e32 v29, -1, v29
	v_mul_lo_u32 v32, 0xbc8f, v32
	v_cvt_f32_u32_e32 v29, v29
	v_fma_f32 v29, 0x30000000, v29, 0
	v_cmp_lt_u32_e32 vcc_lo, v32, v31
	v_mul_f32_e32 v29, v29, v29
	v_cndmask_b32_e32 v31, v34, v33, vcc_lo
	v_fma_f32 v33, 0x30000000, v28, 0
	v_add_nc_u32_e32 v31, v31, v32
	v_fmac_f32_e32 v29, v33, v33
	v_mul_hi_u32 v32, 0xbc8f1391, v31
	v_mul_f32_e32 v33, 0x4f800000, v29
	v_lshrrev_b32_e32 v28, 15, v32
	v_mul_u32_u24_e32 v32, 0xadc8, v28
	v_mul_u32_u24_e32 v28, 0xd47, v28
	v_sub_nc_u32_e32 v32, v31, v32
	v_xor_b32_e32 v34, 0x7fffffff, v28
	v_sub_nc_u32_e32 v35, 0, v28
	v_add_nc_u32_e32 v31, -1, v31
	v_mul_lo_u32 v32, 0xbc8f, v32
	v_cvt_f32_u32_e32 v31, v31
	v_fma_f32 v31, 0x30000000, v31, 0
	v_cmp_lt_u32_e32 vcc_lo, v32, v28
	v_cndmask_b32_e32 v28, v35, v34, vcc_lo
	v_cmp_gt_f32_e32 vcc_lo, 0xf800000, v29
	v_add_f32_e32 v34, 1.0, v26
	v_add_nc_u32_e32 v28, v28, v32
	v_cndmask_b32_e32 v29, v29, v33, vcc_lo
	v_add_nc_u32_e32 v32, -1, v28
	v_cvt_f32_u32_e32 v32, v32
	v_fma_f32 v32, 0x30000000, v32, 0
	v_mul_f32_e32 v32, v32, v32
	v_fmac_f32_e32 v32, v31, v31
	v_sqrt_f32_e32 v31, v29
	v_mul_f32_e32 v33, 0x4f800000, v32
	v_cmp_gt_f32_e64 s0, 0xf800000, v32
	v_cndmask_b32_e64 v32, v32, v33, s0
	v_add_nc_u32_e32 v33, -1, v31
	v_add_nc_u32_e32 v35, 1, v31
	v_sqrt_f32_e32 v36, v32
	v_fma_f32 v37, -v33, v31, v29
	v_fma_f32 v38, -v35, v31, v29
	v_cmp_ge_f32_e64 s1, 0, v37
	v_cndmask_b32_e64 v31, v31, v33, s1
	v_cmp_lt_f32_e64 s1, 0, v38
	v_add_nc_u32_e32 v33, -1, v36
	v_cndmask_b32_e64 v31, v31, v35, s1
	v_add_nc_u32_e32 v35, 1, v36
	v_fma_f32 v37, -v33, v36, v32
	v_mul_f32_e32 v38, 0x37800000, v31
	v_fma_f32 v39, -v35, v36, v32
	v_cmp_ge_f32_e64 s1, 0, v37
	v_cndmask_b32_e32 v31, v31, v38, vcc_lo
	v_cmp_class_f32_e64 vcc_lo, v29, 0x260
	v_cndmask_b32_e64 v33, v36, v33, s1
	v_cmp_lt_f32_e64 s1, 0, v39
	v_cndmask_b32_e32 v29, v31, v29, vcc_lo
	v_cndmask_b32_e64 v33, v33, v35, s1
	v_cmp_nge_f32_e32 vcc_lo, 1.0, v29
	v_mul_f32_e32 v31, 0x37800000, v33
	v_cndmask_b32_e32 v26, v34, v26, vcc_lo
	v_cmp_class_f32_e64 vcc_lo, v32, 0x260
	v_cndmask_b32_e64 v29, v33, v31, s0
	v_add_f32_e32 v31, 1.0, v26
	v_cndmask_b32_e32 v29, v29, v32, vcc_lo
	v_cmp_nge_f32_e32 vcc_lo, 1.0, v29
	v_cndmask_b32_e32 v26, v31, v26, vcc_lo
	s_cbranch_scc1 .LBB35_58
; %bb.59:
	v_add_nc_u32_e32 v28, 0x80857816, v6
	s_movk_i32 s2, 0x2710
	v_lshrrev_b32_e32 v29, 19, v28
	v_xor3_b32 v28, v28, v29, 0xc761c23c
	v_lshl_add_u32 v28, v28, 5, v28
	v_add_nc_u32_e32 v29, 0xe9f8cc1d, v28
	v_lshl_add_u32 v28, v28, 9, 0xaccf6200
	v_xor_b32_e32 v28, v29, v28
	v_lshlrev_b32_e32 v29, 3, v28
	v_add3_u32 v28, v28, v29, 0xfd7046c5
	v_lshrrev_b32_e32 v29, 16, v28
	v_xor3_b32 v28, v28, v29, 0xb55a4f09
	v_mul_hi_u32 v29, v28, 3
	v_sub_nc_u32_e32 v31, v28, v29
	v_lshrrev_b32_e32 v31, 1, v31
	v_add_nc_u32_e32 v29, v31, v29
	v_lshrrev_b32_e32 v29, 30, v29
	v_mul_lo_u32 v29, 0x7fffffff, v29
	v_sub_nc_u32_e32 v28, v28, v29
	v_max_u32_e32 v29, 1, v28
	v_mov_b32_e32 v28, 0
.LBB35_60:                              ; =>This Inner Loop Header: Depth=1
	v_mul_hi_u32 v31, 0xbc8f1391, v29
	s_add_i32 s2, s2, -2
	s_cmp_lg_u32 s2, 0
	v_lshrrev_b32_e32 v31, 15, v31
	v_mul_u32_u24_e32 v32, 0xadc8, v31
	v_mul_u32_u24_e32 v31, 0xd47, v31
	v_sub_nc_u32_e32 v29, v29, v32
	v_xor_b32_e32 v32, 0x7fffffff, v31
	v_sub_nc_u32_e32 v33, 0, v31
	v_mul_lo_u32 v29, 0xbc8f, v29
	v_cmp_lt_u32_e32 vcc_lo, v29, v31
	v_cndmask_b32_e32 v31, v33, v32, vcc_lo
	v_add_nc_u32_e32 v29, v31, v29
	v_mul_hi_u32 v31, 0xbc8f1391, v29
	v_lshrrev_b32_e32 v31, 15, v31
	v_mul_u32_u24_e32 v32, 0xadc8, v31
	v_mul_u32_u24_e32 v31, 0xd47, v31
	v_sub_nc_u32_e32 v32, v29, v32
	v_xor_b32_e32 v33, 0x7fffffff, v31
	v_sub_nc_u32_e32 v34, 0, v31
	v_add_nc_u32_e32 v29, -1, v29
	v_mul_lo_u32 v32, 0xbc8f, v32
	v_cvt_f32_u32_e32 v29, v29
	v_cmp_lt_u32_e32 vcc_lo, v32, v31
	v_cndmask_b32_e32 v31, v34, v33, vcc_lo
	v_add_nc_u32_e32 v31, v31, v32
	v_mul_hi_u32 v32, 0xbc8f1391, v31
	v_lshrrev_b32_e32 v32, 15, v32
	v_mul_u32_u24_e32 v33, 0xadc8, v32
	v_mul_u32_u24_e32 v32, 0xd47, v32
	v_sub_nc_u32_e32 v33, v31, v33
	v_xor_b32_e32 v34, 0x7fffffff, v32
	v_sub_nc_u32_e32 v35, 0, v32
	v_add_nc_u32_e32 v31, -1, v31
	v_mul_lo_u32 v33, 0xbc8f, v33
	v_cvt_f32_u32_e32 v31, v31
	v_fma_f32 v31, 0x30000000, v31, 0
	v_cmp_lt_u32_e32 vcc_lo, v33, v32
	v_mul_f32_e32 v31, v31, v31
	v_cndmask_b32_e32 v32, v35, v34, vcc_lo
	v_fma_f32 v34, 0x30000000, v29, 0
	v_add_nc_u32_e32 v32, v32, v33
	v_fmac_f32_e32 v31, v34, v34
	v_mul_hi_u32 v33, 0xbc8f1391, v32
	v_mul_f32_e32 v34, 0x4f800000, v31
	v_lshrrev_b32_e32 v29, 15, v33
	v_mul_u32_u24_e32 v33, 0xadc8, v29
	v_mul_u32_u24_e32 v29, 0xd47, v29
	v_sub_nc_u32_e32 v33, v32, v33
	v_xor_b32_e32 v35, 0x7fffffff, v29
	v_sub_nc_u32_e32 v36, 0, v29
	v_add_nc_u32_e32 v32, -1, v32
	v_mul_lo_u32 v33, 0xbc8f, v33
	v_cvt_f32_u32_e32 v32, v32
	v_fma_f32 v32, 0x30000000, v32, 0
	v_cmp_lt_u32_e32 vcc_lo, v33, v29
	v_cndmask_b32_e32 v29, v36, v35, vcc_lo
	v_cmp_gt_f32_e32 vcc_lo, 0xf800000, v31
	v_add_f32_e32 v35, 1.0, v28
	v_add_nc_u32_e32 v29, v29, v33
	v_cndmask_b32_e32 v31, v31, v34, vcc_lo
	v_add_nc_u32_e32 v33, -1, v29
	v_cvt_f32_u32_e32 v33, v33
	v_fma_f32 v33, 0x30000000, v33, 0
	v_mul_f32_e32 v33, v33, v33
	v_fmac_f32_e32 v33, v32, v32
	v_sqrt_f32_e32 v32, v31
	v_mul_f32_e32 v34, 0x4f800000, v33
	v_cmp_gt_f32_e64 s0, 0xf800000, v33
	v_cndmask_b32_e64 v33, v33, v34, s0
	v_add_nc_u32_e32 v34, -1, v32
	v_add_nc_u32_e32 v36, 1, v32
	v_sqrt_f32_e32 v37, v33
	v_fma_f32 v38, -v34, v32, v31
	v_fma_f32 v39, -v36, v32, v31
	v_cmp_ge_f32_e64 s1, 0, v38
	v_cndmask_b32_e64 v32, v32, v34, s1
	v_cmp_lt_f32_e64 s1, 0, v39
	v_add_nc_u32_e32 v34, -1, v37
	v_cndmask_b32_e64 v32, v32, v36, s1
	v_add_nc_u32_e32 v36, 1, v37
	v_fma_f32 v38, -v34, v37, v33
	v_mul_f32_e32 v39, 0x37800000, v32
	v_fma_f32 v40, -v36, v37, v33
	v_cmp_ge_f32_e64 s1, 0, v38
	v_cndmask_b32_e32 v32, v32, v39, vcc_lo
	v_cmp_class_f32_e64 vcc_lo, v31, 0x260
	v_cndmask_b32_e64 v34, v37, v34, s1
	v_cmp_lt_f32_e64 s1, 0, v40
	v_cndmask_b32_e32 v31, v32, v31, vcc_lo
	v_cndmask_b32_e64 v34, v34, v36, s1
	v_cmp_nge_f32_e32 vcc_lo, 1.0, v31
	v_mul_f32_e32 v32, 0x37800000, v34
	v_cndmask_b32_e32 v28, v35, v28, vcc_lo
	v_cmp_class_f32_e64 vcc_lo, v33, 0x260
	v_cndmask_b32_e64 v31, v34, v32, s0
	v_add_f32_e32 v32, 1.0, v28
	v_cndmask_b32_e32 v31, v31, v33, vcc_lo
	v_cmp_nge_f32_e32 vcc_lo, 1.0, v31
	v_cndmask_b32_e32 v28, v32, v28, vcc_lo
	s_cbranch_scc1 .LBB35_60
; %bb.61:
	v_add_nc_u32_e32 v29, 0x80957916, v6
	s_movk_i32 s2, 0x2710
	v_lshrrev_b32_e32 v31, 19, v29
	v_xor3_b32 v29, v29, v31, 0xc761c23c
	v_lshl_add_u32 v29, v29, 5, v29
	v_add_nc_u32_e32 v31, 0xe9f8cc1d, v29
	v_lshl_add_u32 v29, v29, 9, 0xaccf6200
	v_xor_b32_e32 v29, v31, v29
	v_lshlrev_b32_e32 v31, 3, v29
	v_add3_u32 v29, v29, v31, 0xfd7046c5
	v_lshrrev_b32_e32 v31, 16, v29
	v_xor3_b32 v29, v29, v31, 0xb55a4f09
	v_mul_hi_u32 v31, v29, 3
	v_sub_nc_u32_e32 v32, v29, v31
	v_lshrrev_b32_e32 v32, 1, v32
	v_add_nc_u32_e32 v31, v32, v31
	v_lshrrev_b32_e32 v31, 30, v31
	v_mul_lo_u32 v31, 0x7fffffff, v31
	v_sub_nc_u32_e32 v29, v29, v31
	v_max_u32_e32 v31, 1, v29
	v_mov_b32_e32 v29, 0
.LBB35_62:                              ; =>This Inner Loop Header: Depth=1
	v_mul_hi_u32 v32, 0xbc8f1391, v31
	s_add_i32 s2, s2, -2
	s_cmp_lg_u32 s2, 0
	v_lshrrev_b32_e32 v32, 15, v32
	v_mul_u32_u24_e32 v33, 0xadc8, v32
	v_mul_u32_u24_e32 v32, 0xd47, v32
	v_sub_nc_u32_e32 v31, v31, v33
	v_xor_b32_e32 v33, 0x7fffffff, v32
	v_sub_nc_u32_e32 v34, 0, v32
	v_mul_lo_u32 v31, 0xbc8f, v31
	v_cmp_lt_u32_e32 vcc_lo, v31, v32
	v_cndmask_b32_e32 v32, v34, v33, vcc_lo
	v_add_nc_u32_e32 v31, v32, v31
	v_mul_hi_u32 v32, 0xbc8f1391, v31
	v_lshrrev_b32_e32 v32, 15, v32
	v_mul_u32_u24_e32 v33, 0xadc8, v32
	v_mul_u32_u24_e32 v32, 0xd47, v32
	v_sub_nc_u32_e32 v33, v31, v33
	v_xor_b32_e32 v34, 0x7fffffff, v32
	v_sub_nc_u32_e32 v35, 0, v32
	v_add_nc_u32_e32 v31, -1, v31
	v_mul_lo_u32 v33, 0xbc8f, v33
	v_cvt_f32_u32_e32 v31, v31
	v_cmp_lt_u32_e32 vcc_lo, v33, v32
	v_cndmask_b32_e32 v32, v35, v34, vcc_lo
	v_add_nc_u32_e32 v32, v32, v33
	v_mul_hi_u32 v33, 0xbc8f1391, v32
	v_lshrrev_b32_e32 v33, 15, v33
	v_mul_u32_u24_e32 v34, 0xadc8, v33
	v_mul_u32_u24_e32 v33, 0xd47, v33
	v_sub_nc_u32_e32 v34, v32, v34
	v_xor_b32_e32 v35, 0x7fffffff, v33
	v_sub_nc_u32_e32 v36, 0, v33
	v_add_nc_u32_e32 v32, -1, v32
	v_mul_lo_u32 v34, 0xbc8f, v34
	v_cvt_f32_u32_e32 v32, v32
	v_fma_f32 v32, 0x30000000, v32, 0
	v_cmp_lt_u32_e32 vcc_lo, v34, v33
	v_mul_f32_e32 v32, v32, v32
	v_cndmask_b32_e32 v33, v36, v35, vcc_lo
	v_fma_f32 v35, 0x30000000, v31, 0
	v_add_nc_u32_e32 v33, v33, v34
	v_fmac_f32_e32 v32, v35, v35
	v_mul_hi_u32 v34, 0xbc8f1391, v33
	v_mul_f32_e32 v35, 0x4f800000, v32
	v_lshrrev_b32_e32 v31, 15, v34
	v_mul_u32_u24_e32 v34, 0xadc8, v31
	v_mul_u32_u24_e32 v31, 0xd47, v31
	v_sub_nc_u32_e32 v34, v33, v34
	v_xor_b32_e32 v36, 0x7fffffff, v31
	v_sub_nc_u32_e32 v37, 0, v31
	v_add_nc_u32_e32 v33, -1, v33
	v_mul_lo_u32 v34, 0xbc8f, v34
	v_cvt_f32_u32_e32 v33, v33
	v_fma_f32 v33, 0x30000000, v33, 0
	v_cmp_lt_u32_e32 vcc_lo, v34, v31
	v_cndmask_b32_e32 v31, v37, v36, vcc_lo
	v_cmp_gt_f32_e32 vcc_lo, 0xf800000, v32
	v_add_f32_e32 v36, 1.0, v29
	v_add_nc_u32_e32 v31, v31, v34
	v_cndmask_b32_e32 v32, v32, v35, vcc_lo
	v_add_nc_u32_e32 v34, -1, v31
	v_cvt_f32_u32_e32 v34, v34
	v_fma_f32 v34, 0x30000000, v34, 0
	v_mul_f32_e32 v34, v34, v34
	v_fmac_f32_e32 v34, v33, v33
	v_sqrt_f32_e32 v33, v32
	v_mul_f32_e32 v35, 0x4f800000, v34
	v_cmp_gt_f32_e64 s0, 0xf800000, v34
	v_cndmask_b32_e64 v34, v34, v35, s0
	v_add_nc_u32_e32 v35, -1, v33
	v_add_nc_u32_e32 v37, 1, v33
	v_sqrt_f32_e32 v38, v34
	v_fma_f32 v39, -v35, v33, v32
	v_fma_f32 v40, -v37, v33, v32
	v_cmp_ge_f32_e64 s1, 0, v39
	v_cndmask_b32_e64 v33, v33, v35, s1
	v_cmp_lt_f32_e64 s1, 0, v40
	v_add_nc_u32_e32 v35, -1, v38
	v_cndmask_b32_e64 v33, v33, v37, s1
	v_add_nc_u32_e32 v37, 1, v38
	v_fma_f32 v39, -v35, v38, v34
	v_mul_f32_e32 v40, 0x37800000, v33
	v_fma_f32 v41, -v37, v38, v34
	v_cmp_ge_f32_e64 s1, 0, v39
	v_cndmask_b32_e32 v33, v33, v40, vcc_lo
	v_cmp_class_f32_e64 vcc_lo, v32, 0x260
	v_cndmask_b32_e64 v35, v38, v35, s1
	v_cmp_lt_f32_e64 s1, 0, v41
	v_cndmask_b32_e32 v32, v33, v32, vcc_lo
	v_cndmask_b32_e64 v35, v35, v37, s1
	v_cmp_nge_f32_e32 vcc_lo, 1.0, v32
	v_mul_f32_e32 v33, 0x37800000, v35
	v_cndmask_b32_e32 v29, v36, v29, vcc_lo
	v_cmp_class_f32_e64 vcc_lo, v34, 0x260
	v_cndmask_b32_e64 v32, v35, v33, s0
	v_add_f32_e32 v33, 1.0, v29
	v_cndmask_b32_e32 v32, v32, v34, vcc_lo
	v_cmp_nge_f32_e32 vcc_lo, 1.0, v32
	v_cndmask_b32_e32 v29, v33, v29, vcc_lo
	s_cbranch_scc1 .LBB35_62
; %bb.63:
	v_add_nc_u32_e32 v31, 0x80a57a16, v6
	s_movk_i32 s2, 0x2710
	v_lshrrev_b32_e32 v32, 19, v31
	v_xor3_b32 v31, v31, v32, 0xc761c23c
	v_lshl_add_u32 v31, v31, 5, v31
	v_add_nc_u32_e32 v32, 0xe9f8cc1d, v31
	v_lshl_add_u32 v31, v31, 9, 0xaccf6200
	v_xor_b32_e32 v31, v32, v31
	v_lshlrev_b32_e32 v32, 3, v31
	v_add3_u32 v31, v31, v32, 0xfd7046c5
	v_lshrrev_b32_e32 v32, 16, v31
	v_xor3_b32 v31, v31, v32, 0xb55a4f09
	v_mul_hi_u32 v32, v31, 3
	v_sub_nc_u32_e32 v33, v31, v32
	v_lshrrev_b32_e32 v33, 1, v33
	v_add_nc_u32_e32 v32, v33, v32
	v_lshrrev_b32_e32 v32, 30, v32
	v_mul_lo_u32 v32, 0x7fffffff, v32
	v_sub_nc_u32_e32 v31, v31, v32
	v_max_u32_e32 v32, 1, v31
	v_mov_b32_e32 v31, 0
.LBB35_64:                              ; =>This Inner Loop Header: Depth=1
	v_mul_hi_u32 v33, 0xbc8f1391, v32
	s_add_i32 s2, s2, -2
	s_cmp_lg_u32 s2, 0
	v_lshrrev_b32_e32 v33, 15, v33
	v_mul_u32_u24_e32 v34, 0xadc8, v33
	v_mul_u32_u24_e32 v33, 0xd47, v33
	v_sub_nc_u32_e32 v32, v32, v34
	v_xor_b32_e32 v34, 0x7fffffff, v33
	v_sub_nc_u32_e32 v35, 0, v33
	v_mul_lo_u32 v32, 0xbc8f, v32
	v_cmp_lt_u32_e32 vcc_lo, v32, v33
	v_cndmask_b32_e32 v33, v35, v34, vcc_lo
	v_add_nc_u32_e32 v32, v33, v32
	v_mul_hi_u32 v33, 0xbc8f1391, v32
	v_lshrrev_b32_e32 v33, 15, v33
	v_mul_u32_u24_e32 v34, 0xadc8, v33
	v_mul_u32_u24_e32 v33, 0xd47, v33
	v_sub_nc_u32_e32 v34, v32, v34
	v_xor_b32_e32 v35, 0x7fffffff, v33
	v_sub_nc_u32_e32 v36, 0, v33
	v_add_nc_u32_e32 v32, -1, v32
	v_mul_lo_u32 v34, 0xbc8f, v34
	v_cvt_f32_u32_e32 v32, v32
	v_cmp_lt_u32_e32 vcc_lo, v34, v33
	v_cndmask_b32_e32 v33, v36, v35, vcc_lo
	v_add_nc_u32_e32 v33, v33, v34
	v_mul_hi_u32 v34, 0xbc8f1391, v33
	v_lshrrev_b32_e32 v34, 15, v34
	v_mul_u32_u24_e32 v35, 0xadc8, v34
	v_mul_u32_u24_e32 v34, 0xd47, v34
	v_sub_nc_u32_e32 v35, v33, v35
	v_xor_b32_e32 v36, 0x7fffffff, v34
	v_sub_nc_u32_e32 v37, 0, v34
	v_add_nc_u32_e32 v33, -1, v33
	v_mul_lo_u32 v35, 0xbc8f, v35
	v_cvt_f32_u32_e32 v33, v33
	v_fma_f32 v33, 0x30000000, v33, 0
	v_cmp_lt_u32_e32 vcc_lo, v35, v34
	v_mul_f32_e32 v33, v33, v33
	v_cndmask_b32_e32 v34, v37, v36, vcc_lo
	v_fma_f32 v36, 0x30000000, v32, 0
	v_add_nc_u32_e32 v34, v34, v35
	v_fmac_f32_e32 v33, v36, v36
	v_mul_hi_u32 v35, 0xbc8f1391, v34
	v_mul_f32_e32 v36, 0x4f800000, v33
	v_lshrrev_b32_e32 v32, 15, v35
	v_mul_u32_u24_e32 v35, 0xadc8, v32
	v_mul_u32_u24_e32 v32, 0xd47, v32
	v_sub_nc_u32_e32 v35, v34, v35
	v_xor_b32_e32 v37, 0x7fffffff, v32
	v_sub_nc_u32_e32 v38, 0, v32
	v_add_nc_u32_e32 v34, -1, v34
	v_mul_lo_u32 v35, 0xbc8f, v35
	v_cvt_f32_u32_e32 v34, v34
	v_fma_f32 v34, 0x30000000, v34, 0
	v_cmp_lt_u32_e32 vcc_lo, v35, v32
	v_cndmask_b32_e32 v32, v38, v37, vcc_lo
	v_cmp_gt_f32_e32 vcc_lo, 0xf800000, v33
	v_add_f32_e32 v37, 1.0, v31
	v_add_nc_u32_e32 v32, v32, v35
	v_cndmask_b32_e32 v33, v33, v36, vcc_lo
	v_add_nc_u32_e32 v35, -1, v32
	v_cvt_f32_u32_e32 v35, v35
	v_fma_f32 v35, 0x30000000, v35, 0
	v_mul_f32_e32 v35, v35, v35
	v_fmac_f32_e32 v35, v34, v34
	v_sqrt_f32_e32 v34, v33
	v_mul_f32_e32 v36, 0x4f800000, v35
	v_cmp_gt_f32_e64 s0, 0xf800000, v35
	v_cndmask_b32_e64 v35, v35, v36, s0
	v_add_nc_u32_e32 v36, -1, v34
	v_add_nc_u32_e32 v38, 1, v34
	v_sqrt_f32_e32 v39, v35
	v_fma_f32 v40, -v36, v34, v33
	v_fma_f32 v41, -v38, v34, v33
	v_cmp_ge_f32_e64 s1, 0, v40
	v_cndmask_b32_e64 v34, v34, v36, s1
	v_cmp_lt_f32_e64 s1, 0, v41
	v_add_nc_u32_e32 v36, -1, v39
	v_cndmask_b32_e64 v34, v34, v38, s1
	v_add_nc_u32_e32 v38, 1, v39
	v_fma_f32 v40, -v36, v39, v35
	v_mul_f32_e32 v41, 0x37800000, v34
	v_fma_f32 v42, -v38, v39, v35
	v_cmp_ge_f32_e64 s1, 0, v40
	v_cndmask_b32_e32 v34, v34, v41, vcc_lo
	v_cmp_class_f32_e64 vcc_lo, v33, 0x260
	v_cndmask_b32_e64 v36, v39, v36, s1
	v_cmp_lt_f32_e64 s1, 0, v42
	v_cndmask_b32_e32 v33, v34, v33, vcc_lo
	v_cndmask_b32_e64 v36, v36, v38, s1
	v_cmp_nge_f32_e32 vcc_lo, 1.0, v33
	v_mul_f32_e32 v34, 0x37800000, v36
	v_cndmask_b32_e32 v31, v37, v31, vcc_lo
	v_cmp_class_f32_e64 vcc_lo, v35, 0x260
	v_cndmask_b32_e64 v33, v36, v34, s0
	v_add_f32_e32 v34, 1.0, v31
	v_cndmask_b32_e32 v33, v33, v35, vcc_lo
	v_cmp_nge_f32_e32 vcc_lo, 1.0, v33
	v_cndmask_b32_e32 v31, v34, v31, vcc_lo
	s_cbranch_scc1 .LBB35_64
; %bb.65:
	v_add_nc_u32_e32 v32, 0x80b57b16, v6
	s_movk_i32 s2, 0x2710
	v_lshrrev_b32_e32 v33, 19, v32
	v_xor3_b32 v32, v32, v33, 0xc761c23c
	v_lshl_add_u32 v32, v32, 5, v32
	v_add_nc_u32_e32 v33, 0xe9f8cc1d, v32
	v_lshl_add_u32 v32, v32, 9, 0xaccf6200
	v_xor_b32_e32 v32, v33, v32
	v_lshlrev_b32_e32 v33, 3, v32
	v_add3_u32 v32, v32, v33, 0xfd7046c5
	v_lshrrev_b32_e32 v33, 16, v32
	v_xor3_b32 v32, v32, v33, 0xb55a4f09
	v_mul_hi_u32 v33, v32, 3
	v_sub_nc_u32_e32 v34, v32, v33
	v_lshrrev_b32_e32 v34, 1, v34
	v_add_nc_u32_e32 v33, v34, v33
	v_lshrrev_b32_e32 v33, 30, v33
	v_mul_lo_u32 v33, 0x7fffffff, v33
	v_sub_nc_u32_e32 v32, v32, v33
	v_max_u32_e32 v33, 1, v32
	v_mov_b32_e32 v32, 0
.LBB35_66:                              ; =>This Inner Loop Header: Depth=1
	v_mul_hi_u32 v34, 0xbc8f1391, v33
	s_add_i32 s2, s2, -2
	s_cmp_lg_u32 s2, 0
	v_lshrrev_b32_e32 v34, 15, v34
	v_mul_u32_u24_e32 v35, 0xadc8, v34
	v_mul_u32_u24_e32 v34, 0xd47, v34
	v_sub_nc_u32_e32 v33, v33, v35
	v_xor_b32_e32 v35, 0x7fffffff, v34
	v_sub_nc_u32_e32 v36, 0, v34
	v_mul_lo_u32 v33, 0xbc8f, v33
	v_cmp_lt_u32_e32 vcc_lo, v33, v34
	v_cndmask_b32_e32 v34, v36, v35, vcc_lo
	v_add_nc_u32_e32 v33, v34, v33
	v_mul_hi_u32 v34, 0xbc8f1391, v33
	v_lshrrev_b32_e32 v34, 15, v34
	v_mul_u32_u24_e32 v35, 0xadc8, v34
	v_mul_u32_u24_e32 v34, 0xd47, v34
	v_sub_nc_u32_e32 v35, v33, v35
	v_xor_b32_e32 v36, 0x7fffffff, v34
	v_sub_nc_u32_e32 v37, 0, v34
	v_add_nc_u32_e32 v33, -1, v33
	v_mul_lo_u32 v35, 0xbc8f, v35
	v_cvt_f32_u32_e32 v33, v33
	v_cmp_lt_u32_e32 vcc_lo, v35, v34
	v_cndmask_b32_e32 v34, v37, v36, vcc_lo
	v_add_nc_u32_e32 v34, v34, v35
	v_mul_hi_u32 v35, 0xbc8f1391, v34
	v_lshrrev_b32_e32 v35, 15, v35
	v_mul_u32_u24_e32 v36, 0xadc8, v35
	v_mul_u32_u24_e32 v35, 0xd47, v35
	v_sub_nc_u32_e32 v36, v34, v36
	v_xor_b32_e32 v37, 0x7fffffff, v35
	v_sub_nc_u32_e32 v38, 0, v35
	v_add_nc_u32_e32 v34, -1, v34
	v_mul_lo_u32 v36, 0xbc8f, v36
	v_cvt_f32_u32_e32 v34, v34
	v_fma_f32 v34, 0x30000000, v34, 0
	v_cmp_lt_u32_e32 vcc_lo, v36, v35
	v_mul_f32_e32 v34, v34, v34
	v_cndmask_b32_e32 v35, v38, v37, vcc_lo
	v_fma_f32 v37, 0x30000000, v33, 0
	v_add_nc_u32_e32 v35, v35, v36
	v_fmac_f32_e32 v34, v37, v37
	v_mul_hi_u32 v36, 0xbc8f1391, v35
	v_mul_f32_e32 v37, 0x4f800000, v34
	v_lshrrev_b32_e32 v33, 15, v36
	v_mul_u32_u24_e32 v36, 0xadc8, v33
	v_mul_u32_u24_e32 v33, 0xd47, v33
	v_sub_nc_u32_e32 v36, v35, v36
	v_xor_b32_e32 v38, 0x7fffffff, v33
	v_sub_nc_u32_e32 v39, 0, v33
	v_add_nc_u32_e32 v35, -1, v35
	v_mul_lo_u32 v36, 0xbc8f, v36
	v_cvt_f32_u32_e32 v35, v35
	v_fma_f32 v35, 0x30000000, v35, 0
	v_cmp_lt_u32_e32 vcc_lo, v36, v33
	v_cndmask_b32_e32 v33, v39, v38, vcc_lo
	v_cmp_gt_f32_e32 vcc_lo, 0xf800000, v34
	v_add_f32_e32 v38, 1.0, v32
	v_add_nc_u32_e32 v33, v33, v36
	v_cndmask_b32_e32 v34, v34, v37, vcc_lo
	v_add_nc_u32_e32 v36, -1, v33
	v_cvt_f32_u32_e32 v36, v36
	v_fma_f32 v36, 0x30000000, v36, 0
	v_mul_f32_e32 v36, v36, v36
	v_fmac_f32_e32 v36, v35, v35
	v_sqrt_f32_e32 v35, v34
	v_mul_f32_e32 v37, 0x4f800000, v36
	v_cmp_gt_f32_e64 s0, 0xf800000, v36
	v_cndmask_b32_e64 v36, v36, v37, s0
	v_add_nc_u32_e32 v37, -1, v35
	v_add_nc_u32_e32 v39, 1, v35
	v_sqrt_f32_e32 v40, v36
	v_fma_f32 v41, -v37, v35, v34
	v_fma_f32 v42, -v39, v35, v34
	v_cmp_ge_f32_e64 s1, 0, v41
	v_cndmask_b32_e64 v35, v35, v37, s1
	v_cmp_lt_f32_e64 s1, 0, v42
	v_add_nc_u32_e32 v37, -1, v40
	v_cndmask_b32_e64 v35, v35, v39, s1
	v_add_nc_u32_e32 v39, 1, v40
	v_fma_f32 v41, -v37, v40, v36
	v_mul_f32_e32 v42, 0x37800000, v35
	v_fma_f32 v43, -v39, v40, v36
	v_cmp_ge_f32_e64 s1, 0, v41
	v_cndmask_b32_e32 v35, v35, v42, vcc_lo
	v_cmp_class_f32_e64 vcc_lo, v34, 0x260
	v_cndmask_b32_e64 v37, v40, v37, s1
	v_cmp_lt_f32_e64 s1, 0, v43
	v_cndmask_b32_e32 v34, v35, v34, vcc_lo
	v_cndmask_b32_e64 v37, v37, v39, s1
	v_cmp_nge_f32_e32 vcc_lo, 1.0, v34
	v_mul_f32_e32 v35, 0x37800000, v37
	v_cndmask_b32_e32 v32, v38, v32, vcc_lo
	v_cmp_class_f32_e64 vcc_lo, v36, 0x260
	v_cndmask_b32_e64 v34, v37, v35, s0
	v_add_f32_e32 v35, 1.0, v32
	v_cndmask_b32_e32 v34, v34, v36, vcc_lo
	v_cmp_nge_f32_e32 vcc_lo, 1.0, v34
	v_cndmask_b32_e32 v32, v35, v32, vcc_lo
	s_cbranch_scc1 .LBB35_66
; %bb.67:
	v_add_nc_u32_e32 v6, 0x80c57c16, v6
	s_movk_i32 s2, 0x2710
	v_lshrrev_b32_e32 v33, 19, v6
	v_xor3_b32 v6, v6, v33, 0xc761c23c
	v_lshl_add_u32 v6, v6, 5, v6
	v_add_nc_u32_e32 v33, 0xe9f8cc1d, v6
	v_lshl_add_u32 v6, v6, 9, 0xaccf6200
	v_xor_b32_e32 v6, v33, v6
	v_lshlrev_b32_e32 v33, 3, v6
	v_add3_u32 v6, v6, v33, 0xfd7046c5
	v_lshrrev_b32_e32 v33, 16, v6
	v_xor3_b32 v6, v6, v33, 0xb55a4f09
	v_mul_hi_u32 v33, v6, 3
	v_sub_nc_u32_e32 v34, v6, v33
	v_lshrrev_b32_e32 v34, 1, v34
	v_add_nc_u32_e32 v33, v34, v33
	v_lshrrev_b32_e32 v33, 30, v33
	v_mul_lo_u32 v33, 0x7fffffff, v33
	v_sub_nc_u32_e32 v6, v6, v33
	v_max_u32_e32 v33, 1, v6
	v_mov_b32_e32 v6, 0
.LBB35_68:                              ; =>This Inner Loop Header: Depth=1
	v_mul_hi_u32 v34, 0xbc8f1391, v33
	s_add_i32 s2, s2, -2
	s_cmp_lg_u32 s2, 0
	v_lshrrev_b32_e32 v34, 15, v34
	v_mul_u32_u24_e32 v35, 0xadc8, v34
	v_mul_u32_u24_e32 v34, 0xd47, v34
	v_sub_nc_u32_e32 v33, v33, v35
	v_xor_b32_e32 v35, 0x7fffffff, v34
	v_sub_nc_u32_e32 v36, 0, v34
	v_mul_lo_u32 v33, 0xbc8f, v33
	v_cmp_lt_u32_e32 vcc_lo, v33, v34
	v_cndmask_b32_e32 v34, v36, v35, vcc_lo
	v_add_nc_u32_e32 v33, v34, v33
	v_mul_hi_u32 v34, 0xbc8f1391, v33
	v_lshrrev_b32_e32 v34, 15, v34
	v_mul_u32_u24_e32 v35, 0xadc8, v34
	v_mul_u32_u24_e32 v34, 0xd47, v34
	v_sub_nc_u32_e32 v35, v33, v35
	v_xor_b32_e32 v36, 0x7fffffff, v34
	v_sub_nc_u32_e32 v37, 0, v34
	v_add_nc_u32_e32 v33, -1, v33
	v_mul_lo_u32 v35, 0xbc8f, v35
	v_cvt_f32_u32_e32 v33, v33
	v_cmp_lt_u32_e32 vcc_lo, v35, v34
	v_cndmask_b32_e32 v34, v37, v36, vcc_lo
	v_add_nc_u32_e32 v34, v34, v35
	v_mul_hi_u32 v35, 0xbc8f1391, v34
	v_lshrrev_b32_e32 v35, 15, v35
	v_mul_u32_u24_e32 v36, 0xadc8, v35
	v_mul_u32_u24_e32 v35, 0xd47, v35
	v_sub_nc_u32_e32 v36, v34, v36
	v_xor_b32_e32 v37, 0x7fffffff, v35
	v_sub_nc_u32_e32 v38, 0, v35
	v_add_nc_u32_e32 v34, -1, v34
	v_mul_lo_u32 v36, 0xbc8f, v36
	v_cvt_f32_u32_e32 v34, v34
	v_fma_f32 v34, 0x30000000, v34, 0
	v_cmp_lt_u32_e32 vcc_lo, v36, v35
	v_mul_f32_e32 v34, v34, v34
	v_cndmask_b32_e32 v35, v38, v37, vcc_lo
	v_fma_f32 v37, 0x30000000, v33, 0
	v_add_nc_u32_e32 v35, v35, v36
	v_fmac_f32_e32 v34, v37, v37
	v_mul_hi_u32 v36, 0xbc8f1391, v35
	v_mul_f32_e32 v37, 0x4f800000, v34
	v_lshrrev_b32_e32 v33, 15, v36
	v_mul_u32_u24_e32 v36, 0xadc8, v33
	v_mul_u32_u24_e32 v33, 0xd47, v33
	v_sub_nc_u32_e32 v36, v35, v36
	v_xor_b32_e32 v38, 0x7fffffff, v33
	v_sub_nc_u32_e32 v39, 0, v33
	v_add_nc_u32_e32 v35, -1, v35
	v_mul_lo_u32 v36, 0xbc8f, v36
	v_cvt_f32_u32_e32 v35, v35
	v_fma_f32 v35, 0x30000000, v35, 0
	v_cmp_lt_u32_e32 vcc_lo, v36, v33
	v_cndmask_b32_e32 v33, v39, v38, vcc_lo
	v_cmp_gt_f32_e32 vcc_lo, 0xf800000, v34
	v_add_f32_e32 v38, 1.0, v6
	v_add_nc_u32_e32 v33, v33, v36
	v_cndmask_b32_e32 v34, v34, v37, vcc_lo
	v_add_nc_u32_e32 v36, -1, v33
	v_cvt_f32_u32_e32 v36, v36
	v_fma_f32 v36, 0x30000000, v36, 0
	v_mul_f32_e32 v36, v36, v36
	v_fmac_f32_e32 v36, v35, v35
	v_sqrt_f32_e32 v35, v34
	v_mul_f32_e32 v37, 0x4f800000, v36
	v_cmp_gt_f32_e64 s0, 0xf800000, v36
	v_cndmask_b32_e64 v36, v36, v37, s0
	v_add_nc_u32_e32 v37, -1, v35
	v_add_nc_u32_e32 v39, 1, v35
	v_sqrt_f32_e32 v40, v36
	v_fma_f32 v41, -v37, v35, v34
	v_fma_f32 v42, -v39, v35, v34
	v_cmp_ge_f32_e64 s1, 0, v41
	v_cndmask_b32_e64 v35, v35, v37, s1
	v_cmp_lt_f32_e64 s1, 0, v42
	v_add_nc_u32_e32 v37, -1, v40
	v_cndmask_b32_e64 v35, v35, v39, s1
	v_add_nc_u32_e32 v39, 1, v40
	v_fma_f32 v41, -v37, v40, v36
	v_mul_f32_e32 v42, 0x37800000, v35
	v_fma_f32 v43, -v39, v40, v36
	v_cmp_ge_f32_e64 s1, 0, v41
	v_cndmask_b32_e32 v35, v35, v42, vcc_lo
	v_cmp_class_f32_e64 vcc_lo, v34, 0x260
	v_cndmask_b32_e64 v37, v40, v37, s1
	v_cmp_lt_f32_e64 s1, 0, v43
	v_cndmask_b32_e32 v34, v35, v34, vcc_lo
	v_cndmask_b32_e64 v37, v37, v39, s1
	v_cmp_nge_f32_e32 vcc_lo, 1.0, v34
	v_mul_f32_e32 v35, 0x37800000, v37
	v_cndmask_b32_e32 v6, v38, v6, vcc_lo
	v_cmp_class_f32_e64 vcc_lo, v36, 0x260
	v_cndmask_b32_e64 v34, v37, v35, s0
	v_add_f32_e32 v35, 1.0, v6
	v_cndmask_b32_e32 v34, v34, v36, vcc_lo
	v_cmp_nge_f32_e32 vcc_lo, 1.0, v34
	v_cndmask_b32_e32 v6, v35, v6, vcc_lo
	s_cbranch_scc1 .LBB35_68
; %bb.69:
	v_mul_f32_e32 v30, 4.0, v30
	v_mul_f32_e32 v27, 4.0, v27
	;; [unrolled: 1-line block ×5, first 2 shown]
	v_div_scale_f32 v34, null, 0x461c4000, 0x461c4000, v30
	v_div_scale_f32 v35, null, 0x461c4000, 0x461c4000, v27
	;; [unrolled: 1-line block ×3, first 2 shown]
	v_rcp_f32_e32 v37, v34
	v_rcp_f32_e32 v38, v35
	v_div_scale_f32 v40, null, 0x461c4000, 0x461c4000, v39
	v_rcp_f32_e32 v22, v36
	v_div_scale_f32 v23, vcc_lo, v30, 0x461c4000, v30
	v_div_scale_f32 v43, s0, v27, 0x461c4000, v27
	v_rcp_f32_e32 v44, v40
	v_fma_f32 v41, -v34, v37, 1.0
	v_fma_f32 v42, -v35, v38, 1.0
	v_div_scale_f32 v51, null, 0x461c4000, 0x461c4000, v25
	v_fma_f32 v45, -v36, v22, 1.0
	v_fmac_f32_e32 v37, v41, v37
	v_fmac_f32_e32 v38, v42, v38
	v_div_scale_f32 v41, s1, v33, 0x461c4000, v33
	v_fmac_f32_e32 v22, v45, v22
	v_mul_f32_e32 v42, v23, v37
	v_mul_f32_e32 v45, v43, v38
	v_fma_f32 v47, -v40, v44, 1.0
	v_div_scale_f32 v46, s2, v39, 0x461c4000, v39
	v_fma_f32 v48, -v34, v42, v23
	v_fma_f32 v49, -v35, v45, v43
	v_mul_f32_e32 v50, v41, v22
	v_fmac_f32_e32 v44, v47, v44
	v_rcp_f32_e32 v47, v51
	v_fmac_f32_e32 v42, v48, v37
	v_fmac_f32_e32 v45, v49, v38
	v_fma_f32 v48, -v36, v50, v41
	v_mul_f32_e32 v19, 4.0, v19
	v_mul_f32_e32 v20, 4.0, v20
	v_fma_f32 v23, -v34, v42, v23
	v_fma_f32 v34, -v35, v45, v43
	v_mul_f32_e32 v43, 4.0, v21
	v_fmac_f32_e32 v50, v48, v22
	v_mul_f32_e32 v35, v46, v44
	v_div_fmas_f32 v21, v23, v37, v42
	s_mov_b32 vcc_lo, s0
	v_div_scale_f32 v37, null, 0x461c4000, 0x461c4000, v43
	v_div_fmas_f32 v23, v34, v38, v45
	v_fma_f32 v34, -v51, v47, 1.0
	v_fma_f32 v36, -v36, v50, v41
	s_mov_b32 vcc_lo, s1
	v_fma_f32 v38, -v40, v35, v46
	v_rcp_f32_e32 v41, v37
	v_fmac_f32_e32 v47, v34, v47
	v_div_scale_f32 v34, s0, v25, 0x461c4000, v25
	v_div_fmas_f32 v36, v36, v22, v50
	v_div_fixup_f32 v22, v23, 0x461c4000, v27
	v_fmac_f32_e32 v35, v38, v44
	v_mul_f32_e32 v27, v34, v47
	v_div_scale_f32 v42, null, 0x461c4000, 0x461c4000, v19
	v_div_fixup_f32 v23, v36, 0x461c4000, v33
	v_mul_f32_e32 v18, 4.0, v18
	v_fma_f32 v36, -v51, v27, v34
	v_div_fixup_f32 v21, v21, 0x461c4000, v30
	v_fma_f32 v30, -v37, v41, 1.0
	v_fma_f32 v33, -v40, v35, v46
	v_div_scale_f32 v38, null, 0x461c4000, 0x461c4000, v20
	v_fmac_f32_e32 v27, v36, v47
	v_rcp_f32_e32 v36, v42
	v_div_scale_f32 v46, null, 0x461c4000, 0x461c4000, v18
	v_fmac_f32_e32 v41, v30, v41
	v_div_scale_f32 v30, s1, v43, 0x461c4000, v43
	v_rcp_f32_e32 v40, v38
	v_rcp_f32_e32 v49, v46
	s_mov_b32 vcc_lo, s2
	v_fma_f32 v34, -v51, v27, v34
	v_div_fmas_f32 v33, v33, v44, v35
	v_mul_f32_e32 v35, v30, v41
	v_fma_f32 v48, -v42, v36, 1.0
	v_mul_f32_e32 v17, 4.0, v17
	s_mov_b32 vcc_lo, s0
	v_mul_f32_e32 v16, 4.0, v16
	v_fma_f32 v44, -v38, v40, 1.0
	v_fma_f32 v45, -v37, v35, v30
	v_div_fmas_f32 v27, v34, v47, v27
	v_fmac_f32_e32 v36, v48, v36
	v_fma_f32 v47, -v46, v49, 1.0
	v_div_scale_f32 v48, null, 0x461c4000, 0x461c4000, v17
	v_fmac_f32_e32 v40, v44, v40
	v_div_scale_f32 v44, s2, v20, 0x461c4000, v20
	v_fmac_f32_e32 v35, v45, v41
	v_fmac_f32_e32 v49, v47, v49
	v_rcp_f32_e32 v47, v48
	v_mul_f32_e32 v34, v44, v40
	v_div_scale_f32 v45, s0, v19, 0x461c4000, v19
	v_fma_f32 v30, -v37, v35, v30
	s_mov_b32 vcc_lo, s1
	v_fma_f32 v37, -v38, v34, v44
	v_mul_f32_e32 v50, v45, v36
	v_div_scale_f32 v51, s3, v18, 0x461c4000, v18
	v_div_fmas_f32 v30, v30, v41, v35
	v_fma_f32 v41, -v48, v47, 1.0
	v_div_scale_f32 v52, null, 0x461c4000, 0x461c4000, v16
	v_fmac_f32_e32 v34, v37, v40
	v_fma_f32 v35, -v42, v50, v45
	v_mul_f32_e32 v37, v51, v49
	v_fmac_f32_e32 v47, v41, v47
	v_rcp_f32_e32 v41, v52
	v_fma_f32 v38, -v38, v34, v44
	v_fmac_f32_e32 v50, v35, v36
	v_fma_f32 v35, -v46, v37, v51
	v_mul_f32_e32 v15, 4.0, v15
	s_mov_b32 vcc_lo, s2
	v_div_scale_f32 v44, s1, v17, 0x461c4000, v17
	v_div_fmas_f32 v34, v38, v40, v34
	v_fma_f32 v38, -v42, v50, v45
	v_fmac_f32_e32 v37, v35, v49
	v_fma_f32 v40, -v52, v41, 1.0
	v_div_scale_f32 v42, null, 0x461c4000, 0x461c4000, v15
	s_mov_b32 vcc_lo, s0
	v_mul_f32_e32 v35, v44, v47
	v_div_fmas_f32 v36, v38, v36, v50
	v_fma_f32 v38, -v46, v37, v51
	v_rcp_f32_e32 v45, v42
	v_fmac_f32_e32 v41, v40, v41
	v_div_scale_f32 v40, s0, v16, 0x461c4000, v16
	s_mov_b32 vcc_lo, s3
	v_fma_f32 v46, -v48, v35, v44
	v_div_fmas_f32 v37, v38, v49, v37
	v_mul_f32_e32 v14, 4.0, v14
	v_mul_f32_e32 v38, v40, v41
	v_mul_f32_e32 v13, 4.0, v13
	v_fma_f32 v49, -v42, v45, 1.0
	v_fmac_f32_e32 v35, v46, v47
	v_div_scale_f32 v46, null, 0x461c4000, 0x461c4000, v14
	v_fma_f32 v50, -v52, v38, v40
	v_fmac_f32_e32 v45, v49, v45
	v_div_scale_f32 v49, s2, v15, 0x461c4000, v15
	v_rcp_f32_e32 v51, v46
	v_fmac_f32_e32 v38, v50, v41
	v_div_scale_f32 v50, null, 0x461c4000, 0x461c4000, v13
	v_fma_f32 v44, -v48, v35, v44
	v_mul_f32_e32 v48, v49, v45
	v_fma_f32 v40, -v52, v38, v40
	v_rcp_f32_e32 v52, v50
	v_mul_f32_e32 v12, 4.0, v12
	s_mov_b32 vcc_lo, s1
	v_mul_f32_e32 v11, 4.0, v11
	v_div_fmas_f32 v35, v44, v47, v35
	v_fma_f32 v44, -v46, v51, 1.0
	v_fma_f32 v47, -v42, v48, v49
	v_div_scale_f32 v53, null, 0x461c4000, 0x461c4000, v12
	s_mov_b32 vcc_lo, s0
	v_fmac_f32_e32 v51, v44, v51
	v_div_scale_f32 v44, s1, v14, 0x461c4000, v14
	v_div_fmas_f32 v38, v40, v41, v38
	v_fma_f32 v40, -v50, v52, 1.0
	v_fmac_f32_e32 v48, v47, v45
	v_rcp_f32_e32 v47, v53
	v_mul_f32_e32 v41, v44, v51
	v_div_scale_f32 v54, null, 0x461c4000, 0x461c4000, v11
	v_fmac_f32_e32 v52, v40, v52
	v_div_scale_f32 v40, s0, v13, 0x461c4000, v13
	v_fma_f32 v42, -v42, v48, v49
	v_fma_f32 v49, -v46, v41, v44
	v_rcp_f32_e32 v57, v54
	v_mul_f32_e32 v55, v40, v52
	v_fma_f32 v56, -v53, v47, 1.0
	v_mul_f32_e32 v10, 4.0, v10
	s_mov_b32 vcc_lo, s2
	v_fmac_f32_e32 v41, v49, v51
	v_div_fmas_f32 v42, v42, v45, v48
	v_fma_f32 v45, -v50, v55, v40
	v_fmac_f32_e32 v47, v56, v47
	v_div_scale_f32 v48, s2, v12, 0x461c4000, v12
	v_div_scale_f32 v49, null, 0x461c4000, 0x461c4000, v10
	v_mul_f32_e32 v9, 4.0, v9
	v_fma_f32 v44, -v46, v41, v44
	v_fma_f32 v46, -v54, v57, 1.0
	v_fmac_f32_e32 v55, v45, v52
	v_mul_f32_e32 v45, v48, v47
	v_rcp_f32_e32 v56, v49
	v_div_scale_f32 v58, null, 0x461c4000, 0x461c4000, v9
	s_mov_b32 vcc_lo, s1
	v_fmac_f32_e32 v57, v46, v57
	v_div_scale_f32 v46, s3, v11, 0x461c4000, v11
	v_div_fmas_f32 v41, v44, v51, v41
	v_fma_f32 v44, -v53, v45, v48
	v_rcp_f32_e32 v51, v58
	v_fma_f32 v40, -v50, v55, v40
	v_mul_f32_e32 v50, v46, v57
	v_fma_f32 v59, -v49, v56, 1.0
	v_fmac_f32_e32 v45, v44, v47
	v_mul_f32_e32 v8, 4.0, v8
	s_mov_b32 vcc_lo, s0
	v_fma_f32 v44, -v54, v50, v46
	v_div_fmas_f32 v40, v40, v52, v55
	v_fmac_f32_e32 v56, v59, v56
	v_div_scale_f32 v52, s0, v10, 0x461c4000, v10
	v_fma_f32 v55, -v58, v51, 1.0
	v_fma_f32 v48, -v53, v45, v48
	v_div_scale_f32 v53, null, 0x461c4000, 0x461c4000, v8
	s_mov_b32 vcc_lo, s2
	v_fmac_f32_e32 v50, v44, v57
	v_mul_f32_e32 v44, v52, v56
	v_fmac_f32_e32 v51, v55, v51
	v_div_scale_f32 v55, s1, v9, 0x461c4000, v9
	v_div_fmas_f32 v45, v48, v47, v45
	v_rcp_f32_e32 v47, v53
	v_fma_f32 v46, -v54, v50, v46
	v_fma_f32 v48, -v49, v44, v52
	v_mul_f32_e32 v54, v55, v51
	s_mov_b32 vcc_lo, s3
	v_mul_f32_e32 v7, 4.0, v7
	v_div_fmas_f32 v46, v46, v57, v50
	v_fmac_f32_e32 v44, v48, v56
	v_fma_f32 v48, -v58, v54, v55
	v_mul_f32_e32 v5, 4.0, v5
	v_fma_f32 v50, -v53, v47, 1.0
	v_div_scale_f32 v57, null, 0x461c4000, 0x461c4000, v7
	v_fma_f32 v49, -v49, v44, v52
	v_fmac_f32_e32 v54, v48, v51
	v_fmac_f32_e32 v47, v50, v47
	v_div_scale_f32 v50, s2, v8, 0x461c4000, v8
	s_mov_b32 vcc_lo, s0
	v_rcp_f32_e32 v48, v57
	v_div_scale_f32 v52, null, 0x461c4000, 0x461c4000, v5
	v_div_fmas_f32 v44, v49, v56, v44
	v_fma_f32 v49, -v58, v54, v55
	v_mul_f32_e32 v55, v50, v47
	s_mov_b32 vcc_lo, s1
	v_rcp_f32_e32 v56, v52
	v_mul_f32_e32 v4, 4.0, v4
	v_div_fmas_f32 v49, v49, v51, v54
	v_fma_f32 v51, -v53, v55, v50
	v_fma_f32 v58, -v57, v48, 1.0
	v_div_scale_f32 v54, s0, v7, 0x461c4000, v7
	v_div_fixup_f32 v33, v33, 0x461c4000, v39
	v_fmac_f32_e32 v55, v51, v47
	v_div_scale_f32 v51, null, 0x461c4000, 0x461c4000, v4
	v_fmac_f32_e32 v48, v58, v48
	v_fma_f32 v58, -v52, v56, 1.0
	v_fma_f32 v39, -v53, v55, v50
	v_rcp_f32_e32 v60, v51
	s_mov_b32 vcc_lo, s2
	v_mul_f32_e32 v59, v54, v48
	v_fmac_f32_e32 v56, v58, v56
	v_div_scale_f32 v58, s1, v5, 0x461c4000, v5
	v_div_fmas_f32 v39, v39, v47, v55
	v_fma_f32 v50, -v57, v59, v54
	v_mul_f32_e32 v3, 4.0, v3
	v_mul_f32_e32 v53, v58, v56
	v_fma_f32 v47, -v51, v60, 1.0
	v_mul_f32_e32 v2, 4.0, v2
	v_fmac_f32_e32 v59, v50, v48
	v_div_scale_f32 v55, null, 0x461c4000, 0x461c4000, v3
	v_fma_f32 v50, -v52, v53, v58
	v_fmac_f32_e32 v60, v47, v60
	v_div_scale_f32 v47, s2, v4, 0x461c4000, v4
	v_fma_f32 v54, -v57, v59, v54
	v_rcp_f32_e32 v57, v55
	v_fmac_f32_e32 v53, v50, v56
	v_mul_f32_e32 v50, v47, v60
	s_mov_b32 vcc_lo, s0
	v_mul_f32_e32 v1, 4.0, v1
	v_div_fmas_f32 v48, v54, v48, v59
	v_div_scale_f32 v59, null, 0x461c4000, 0x461c4000, v2
	v_fma_f32 v54, -v51, v50, v47
	v_fma_f32 v52, -v52, v53, v58
	v_fma_f32 v58, -v55, v57, 1.0
	s_mov_b32 vcc_lo, s1
	v_div_fixup_f32 v25, v27, 0x461c4000, v25
	v_fmac_f32_e32 v50, v54, v60
	v_rcp_f32_e32 v54, v59
	v_fmac_f32_e32 v57, v58, v57
	v_div_scale_f32 v58, s0, v3, 0x461c4000, v3
	v_div_fmas_f32 v52, v52, v56, v53
	v_fma_f32 v47, -v51, v50, v47
	v_div_scale_f32 v53, null, 0x461c4000, 0x461c4000, v1
	s_mov_b32 vcc_lo, s2
	v_mul_f32_e32 v51, v58, v57
	v_fma_f32 v56, -v59, v54, 1.0
	v_div_fmas_f32 v47, v47, v60, v50
	v_rcp_f32_e32 v50, v53
	s_mov_b32 vcc_lo, s0
	v_fma_f32 v60, -v55, v51, v58
	v_fmac_f32_e32 v54, v56, v54
	v_div_scale_f32 v56, s1, v2, 0x461c4000, v2
	v_div_fixup_f32 v4, v47, 0x461c4000, v4
	v_fmac_f32_e32 v51, v60, v57
	v_mul_f32_e32 v24, 4.0, v24
	v_mul_f32_e32 v27, v56, v54
	v_fma_f32 v60, -v53, v50, 1.0
	v_div_fixup_f32 v5, v52, 0x461c4000, v5
	v_fma_f32 v55, -v55, v51, v58
	v_div_fixup_f32 v7, v48, 0x461c4000, v7
	v_fma_f32 v58, -v59, v27, v56
	v_fmac_f32_e32 v50, v60, v50
	v_div_scale_f32 v60, s2, v1, 0x461c4000, v1
	v_div_fmas_f32 v51, v55, v57, v51
	v_fmac_f32_e32 v27, v58, v54
	s_mov_b32 vcc_lo, s1
	v_mul_f32_e32 v58, v60, v50
	v_div_fixup_f32 v8, v39, 0x461c4000, v8
	v_div_fixup_f32 v3, v51, 0x461c4000, v3
	v_fma_f32 v56, -v59, v27, v56
	v_div_fixup_f32 v9, v49, 0x461c4000, v9
	v_fma_f32 v61, -v53, v58, v60
	v_div_fixup_f32 v10, v44, 0x461c4000, v10
	v_div_fixup_f32 v20, v34, 0x461c4000, v20
	v_div_fmas_f32 v27, v56, v54, v27
	s_mov_b32 vcc_lo, s2
	v_fmac_f32_e32 v58, v61, v50
	v_div_fixup_f32 v19, v36, 0x461c4000, v19
	v_div_fixup_f32 v14, v41, 0x461c4000, v14
	;; [unrolled: 1-line block ×3, first 2 shown]
	v_div_scale_f32 v27, null, 0x461c4000, 0x461c4000, v24
	v_fma_f32 v53, -v53, v58, v60
	v_div_fixup_f32 v16, v38, 0x461c4000, v16
	v_div_fixup_f32 v30, v30, 0x461c4000, v43
	v_mul_f32_e32 v6, 4.0, v6
	v_div_fmas_f32 v50, v53, v50, v58
	v_div_fixup_f32 v1, v50, 0x461c4000, v1
	v_add_f32_e32 v1, v1, v2
	v_div_fixup_f32 v2, v37, 0x461c4000, v18
	v_rcp_f32_e32 v18, v27
	v_add_f32_e32 v1, v1, v3
	v_div_fixup_f32 v3, v42, 0x461c4000, v15
	v_mul_f32_e32 v15, 4.0, v26
	v_add_f32_e32 v1, v1, v4
	v_div_scale_f32 v4, null, 0x461c4000, 0x461c4000, v15
	v_fma_f32 v26, -v27, v18, 1.0
	v_add_f32_e32 v1, v1, v5
	v_rcp_f32_e32 v5, v4
	v_fmac_f32_e32 v18, v26, v18
	v_add_f32_e32 v1, v1, v7
	v_div_scale_f32 v7, vcc_lo, v24, 0x461c4000, v24
	v_mul_f32_e32 v26, 4.0, v28
	v_add_f32_e32 v1, v1, v8
	v_mul_f32_e32 v34, v7, v18
	v_fma_f32 v8, -v4, v5, 1.0
	v_div_scale_f32 v28, null, 0x461c4000, 0x461c4000, v26
	v_add_f32_e32 v1, v1, v9
	v_div_fixup_f32 v9, v46, 0x461c4000, v11
	v_fmac_f32_e32 v5, v8, v5
	v_div_scale_f32 v8, s0, v15, 0x461c4000, v15
	v_add_f32_e32 v1, v1, v10
	v_div_fixup_f32 v10, v45, 0x461c4000, v12
	v_fma_f32 v11, -v27, v34, v7
	v_mul_f32_e32 v12, v8, v5
	v_rcp_f32_e32 v36, v28
	v_add_f32_e32 v1, v1, v9
	v_div_fixup_f32 v9, v40, 0x461c4000, v13
	v_fmac_f32_e32 v34, v11, v18
	v_fma_f32 v11, -v4, v12, v8
	v_mul_f32_e32 v13, 4.0, v29
	v_add_f32_e32 v1, v1, v10
	v_div_scale_f32 v10, s1, v26, 0x461c4000, v26
	v_fmac_f32_e32 v12, v11, v5
	v_fma_f32 v7, -v27, v34, v7
	v_add_f32_e32 v1, v1, v9
	v_fma_f32 v37, -v28, v36, 1.0
	v_div_scale_f32 v11, null, 0x461c4000, 0x461c4000, v13
	v_fma_f32 v4, -v4, v12, v8
	v_add_f32_e32 v1, v1, v14
	v_div_fmas_f32 v7, v7, v18, v34
	s_mov_b32 vcc_lo, s0
	v_fmac_f32_e32 v36, v37, v36
	v_rcp_f32_e32 v14, v11
	v_add_f32_e32 v1, v1, v3
	v_div_fmas_f32 v3, v4, v5, v12
	v_div_fixup_f32 v4, v35, 0x461c4000, v17
	v_mul_f32_e32 v9, v10, v36
	v_div_fixup_f32 v5, v7, 0x461c4000, v24
	v_add_f32_e32 v1, v1, v16
	v_mul_f32_e32 v7, 4.0, v31
	v_mul_f32_e32 v12, 4.0, v32
	v_fma_f32 v8, -v28, v9, v10
	s_mov_b32 vcc_lo, s1
	v_add_f32_e32 v1, v1, v4
	v_div_fixup_f32 v3, v3, 0x461c4000, v15
	v_fmac_f32_e32 v9, v8, v36
	v_fma_f32 v8, -v11, v14, 1.0
	v_add_f32_e32 v1, v1, v2
	v_div_scale_f32 v2, s0, v13, 0x461c4000, v13
	v_fma_f32 v4, -v28, v9, v10
	v_div_scale_f32 v10, null, 0x461c4000, 0x461c4000, v7
	v_add_f32_e32 v1, v1, v19
	v_fmac_f32_e32 v14, v8, v14
	v_div_fmas_f32 v4, v4, v36, v9
	v_rcp_f32_e32 v8, v10
	v_div_scale_f32 v9, null, 0x461c4000, 0x461c4000, v12
	v_add_f32_e32 v1, v1, v20
	v_div_scale_f32 v19, null, 0x461c4000, 0x461c4000, v6
	v_rcp_f32_e32 v17, v9
	v_mul_f32_e32 v15, v2, v14
	v_add_f32_e32 v1, v1, v30
	v_rcp_f32_e32 v20, v19
	v_fma_f32 v16, -v10, v8, 1.0
	s_mov_b32 vcc_lo, s0
	v_fma_f32 v18, -v11, v15, v2
	v_add_f32_e32 v1, v1, v25
	v_div_fixup_f32 v4, v4, 0x461c4000, v26
	v_fmac_f32_e32 v8, v16, v8
	v_div_scale_f32 v16, s1, v7, 0x461c4000, v7
	v_add_f32_e32 v1, v1, v33
	v_fma_f32 v24, -v9, v17, 1.0
	v_fmac_f32_e32 v15, v18, v14
	v_mul_f32_e32 v18, v16, v8
	s_mov_b32 s0, exec_lo
	v_add_f32_e32 v1, v1, v23
	v_fmac_f32_e32 v17, v24, v17
	v_div_scale_f32 v23, s2, v12, 0x461c4000, v12
	v_fma_f32 v24, -v19, v20, 1.0
	v_add_f32_e32 v1, v1, v22
	v_fma_f32 v2, -v11, v15, v2
	v_fma_f32 v11, -v10, v18, v16
	v_mul_f32_e32 v22, v23, v17
	v_fmac_f32_e32 v20, v24, v20
	v_div_scale_f32 v24, s3, v6, 0x461c4000, v6
	v_add_f32_e32 v1, v1, v21
	v_div_fmas_f32 v2, v2, v14, v15
	v_fmac_f32_e32 v18, v11, v8
	v_fma_f32 v11, -v9, v22, v23
	v_mul_f32_e32 v14, v24, v20
	v_add_f32_e32 v1, v1, v5
	s_mov_b32 vcc_lo, s1
	v_fma_f32 v5, -v10, v18, v16
	v_fmac_f32_e32 v22, v11, v17
	v_fma_f32 v10, -v19, v14, v24
	v_add_f32_e32 v1, v1, v3
	v_div_fixup_f32 v2, v2, 0x461c4000, v13
	v_div_fmas_f32 v3, v5, v8, v18
	v_fma_f32 v5, -v9, v22, v23
	v_fmac_f32_e32 v14, v10, v20
	v_add_f32_e32 v1, v1, v4
	s_mov_b32 vcc_lo, s2
	v_div_fixup_f32 v3, v3, 0x461c4000, v7
	v_div_fmas_f32 v4, v5, v17, v22
	v_fma_f32 v5, -v19, v14, v24
	v_add_f32_e32 v1, v1, v2
	s_mov_b32 vcc_lo, s3
	v_div_fixup_f32 v2, v4, 0x461c4000, v12
	v_div_fmas_f32 v4, v5, v20, v14
	v_add_f32_e32 v1, v1, v3
	v_div_fixup_f32 v3, v4, 0x461c4000, v6
	v_add_f32_e32 v1, v1, v2
	v_add_f32_e32 v1, v1, v3
	v_mov_b32_dpp v2, v1 quad_perm:[1,0,3,2] row_mask:0xf bank_mask:0xf
	v_add_f32_e32 v1, v1, v2
	v_mov_b32_dpp v2, v1 quad_perm:[2,3,0,1] row_mask:0xf bank_mask:0xf
	v_add_f32_e32 v1, v1, v2
	v_mov_b32_dpp v2, v1 row_ror:4 row_mask:0xf bank_mask:0xf
	v_add_f32_e32 v1, v1, v2
	v_mov_b32_dpp v2, v1 row_ror:8 row_mask:0xf bank_mask:0xf
	v_add_f32_e32 v1, v1, v2
	ds_swizzle_b32 v2, v1 offset:swizzle(BROADCAST,32,15)
	s_waitcnt lgkmcnt(0)
	v_add_f32_e32 v1, v1, v2
	v_mov_b32_e32 v2, 0
	ds_bpermute_b32 v1, v2, v1 offset:124
	v_mbcnt_lo_u32_b32 v2, -1, 0
	v_cmpx_eq_u32_e32 0, v2
	s_cbranch_execz .LBB35_71
; %bb.70:
	v_lshrrev_b32_e32 v3, 3, v0
	v_and_b32_e32 v3, 28, v3
	s_waitcnt lgkmcnt(0)
	ds_write_b32 v3, v1 offset:96
.LBB35_71:
	s_or_b32 exec_lo, exec_lo, s0
	s_mov_b32 s0, exec_lo
	s_waitcnt lgkmcnt(0)
	s_barrier
	buffer_gl0_inv
	v_cmpx_gt_u32_e32 32, v0
	s_cbranch_execz .LBB35_73
; %bb.72:
	v_lshl_or_b32 v1, v2, 2, 0x60
	v_and_b32_e32 v3, 7, v2
	ds_read_b32 v1, v1
	v_cmp_ne_u32_e32 vcc_lo, 7, v3
	v_add_co_ci_u32_e64 v4, null, 0, v2, vcc_lo
	v_cmp_gt_u32_e32 vcc_lo, 6, v3
	v_lshlrev_b32_e32 v4, 2, v4
	v_cndmask_b32_e64 v3, 0, 2, vcc_lo
	v_add_lshl_u32 v3, v3, v2, 2
	v_lshlrev_b32_e32 v2, 2, v2
	s_waitcnt lgkmcnt(0)
	ds_bpermute_b32 v4, v4, v1
	v_or_b32_e32 v2, 16, v2
	s_waitcnt lgkmcnt(0)
	v_add_f32_e32 v1, v1, v4
	ds_bpermute_b32 v3, v3, v1
	s_waitcnt lgkmcnt(0)
	v_add_f32_e32 v1, v1, v3
	ds_bpermute_b32 v2, v2, v1
	s_waitcnt lgkmcnt(0)
	v_add_f32_e32 v1, v1, v2
.LBB35_73:
	s_or_b32 exec_lo, exec_lo, s0
.LBB35_74:
	v_cmp_eq_u32_e64 s0, 0, v0
	s_and_b32 vcc_lo, exec_lo, s44
	s_cbranch_vccnz .LBB35_79
	s_branch .LBB35_253
.LBB35_75:
	s_mov_b32 s0, 0
                                        ; implicit-def: $vgpr1
	s_cbranch_execnz .LBB35_390
	s_branch .LBB35_474
.LBB35_76:
	s_mov_b32 s0, 0
                                        ; implicit-def: $vgpr1
	s_cbranch_execnz .LBB35_326
	s_branch .LBB35_350
.LBB35_77:
	s_mov_b32 s44, -1
.LBB35_78:
	s_mov_b32 s0, 0
                                        ; implicit-def: $vgpr1
	s_and_b32 vcc_lo, exec_lo, s44
	s_cbranch_vccz .LBB35_253
.LBB35_79:
	s_cmp_eq_u32 s38, 16
	s_cbranch_scc0 .LBB35_118
; %bb.80:
	s_lshl_b32 s8, s6, 12
	s_mov_b32 s7, 0
	s_lshr_b64 s[0:1], s[40:41], 12
	s_add_i32 s20, s39, s8
	s_cmp_lg_u64 s[0:1], s[6:7]
	s_cbranch_scc0 .LBB35_254
; %bb.81:
	v_add_nc_u32_e32 v2, s20, v0
	s_movk_i32 s2, 0x2710
	v_lshlrev_b32_e32 v1, 12, v2
	v_add3_u32 v1, v2, v1, 0x7ed55d16
	v_lshrrev_b32_e32 v3, 19, v1
	v_xor3_b32 v1, v1, v3, 0xc761c23c
	v_lshl_add_u32 v1, v1, 5, v1
	v_add_nc_u32_e32 v3, 0xe9f8cc1d, v1
	v_lshl_add_u32 v1, v1, 9, 0xaccf6200
	v_xor_b32_e32 v1, v3, v1
	v_lshlrev_b32_e32 v3, 3, v1
	v_add3_u32 v1, v1, v3, 0xfd7046c5
	v_lshrrev_b32_e32 v3, 16, v1
	v_xor3_b32 v1, v1, v3, 0xb55a4f09
	v_mul_hi_u32 v3, v1, 3
	v_sub_nc_u32_e32 v4, v1, v3
	v_lshrrev_b32_e32 v4, 1, v4
	v_add_nc_u32_e32 v3, v4, v3
	v_lshrrev_b32_e32 v3, 30, v3
	v_mul_lo_u32 v3, 0x7fffffff, v3
	v_sub_nc_u32_e32 v1, v1, v3
	v_max_u32_e32 v3, 1, v1
	v_mov_b32_e32 v1, 0
.LBB35_82:                              ; =>This Inner Loop Header: Depth=1
	v_mul_hi_u32 v4, 0xbc8f1391, v3
	s_add_i32 s2, s2, -2
	s_cmp_lg_u32 s2, 0
	v_lshrrev_b32_e32 v4, 15, v4
	v_mul_u32_u24_e32 v5, 0xadc8, v4
	v_mul_u32_u24_e32 v4, 0xd47, v4
	v_sub_nc_u32_e32 v3, v3, v5
	v_xor_b32_e32 v5, 0x7fffffff, v4
	v_sub_nc_u32_e32 v6, 0, v4
	v_mul_lo_u32 v3, 0xbc8f, v3
	v_cmp_lt_u32_e32 vcc_lo, v3, v4
	v_cndmask_b32_e32 v4, v6, v5, vcc_lo
	v_add_nc_u32_e32 v3, v4, v3
	v_mul_hi_u32 v4, 0xbc8f1391, v3
	v_lshrrev_b32_e32 v4, 15, v4
	v_mul_u32_u24_e32 v5, 0xadc8, v4
	v_mul_u32_u24_e32 v4, 0xd47, v4
	v_sub_nc_u32_e32 v5, v3, v5
	v_xor_b32_e32 v6, 0x7fffffff, v4
	v_sub_nc_u32_e32 v7, 0, v4
	v_add_nc_u32_e32 v3, -1, v3
	v_mul_lo_u32 v5, 0xbc8f, v5
	v_cvt_f32_u32_e32 v3, v3
	v_cmp_lt_u32_e32 vcc_lo, v5, v4
	v_cndmask_b32_e32 v4, v7, v6, vcc_lo
	v_add_nc_u32_e32 v4, v4, v5
	v_mul_hi_u32 v5, 0xbc8f1391, v4
	v_lshrrev_b32_e32 v5, 15, v5
	v_mul_u32_u24_e32 v6, 0xadc8, v5
	v_mul_u32_u24_e32 v5, 0xd47, v5
	v_sub_nc_u32_e32 v6, v4, v6
	v_xor_b32_e32 v7, 0x7fffffff, v5
	v_sub_nc_u32_e32 v8, 0, v5
	v_add_nc_u32_e32 v4, -1, v4
	v_mul_lo_u32 v6, 0xbc8f, v6
	v_cvt_f32_u32_e32 v4, v4
	v_fma_f32 v4, 0x30000000, v4, 0
	v_cmp_lt_u32_e32 vcc_lo, v6, v5
	v_mul_f32_e32 v4, v4, v4
	v_cndmask_b32_e32 v5, v8, v7, vcc_lo
	v_fma_f32 v7, 0x30000000, v3, 0
	v_add_nc_u32_e32 v5, v5, v6
	v_fmac_f32_e32 v4, v7, v7
	v_mul_hi_u32 v6, 0xbc8f1391, v5
	v_mul_f32_e32 v7, 0x4f800000, v4
	v_lshrrev_b32_e32 v3, 15, v6
	v_mul_u32_u24_e32 v6, 0xadc8, v3
	v_mul_u32_u24_e32 v3, 0xd47, v3
	v_sub_nc_u32_e32 v6, v5, v6
	v_xor_b32_e32 v8, 0x7fffffff, v3
	v_sub_nc_u32_e32 v9, 0, v3
	v_add_nc_u32_e32 v5, -1, v5
	v_mul_lo_u32 v6, 0xbc8f, v6
	v_cvt_f32_u32_e32 v5, v5
	v_fma_f32 v5, 0x30000000, v5, 0
	v_cmp_lt_u32_e32 vcc_lo, v6, v3
	v_cndmask_b32_e32 v3, v9, v8, vcc_lo
	v_cmp_gt_f32_e32 vcc_lo, 0xf800000, v4
	v_add_f32_e32 v8, 1.0, v1
	v_add_nc_u32_e32 v3, v3, v6
	v_cndmask_b32_e32 v4, v4, v7, vcc_lo
	v_add_nc_u32_e32 v6, -1, v3
	v_cvt_f32_u32_e32 v6, v6
	v_fma_f32 v6, 0x30000000, v6, 0
	v_mul_f32_e32 v6, v6, v6
	v_fmac_f32_e32 v6, v5, v5
	v_sqrt_f32_e32 v5, v4
	v_mul_f32_e32 v7, 0x4f800000, v6
	v_cmp_gt_f32_e64 s0, 0xf800000, v6
	v_cndmask_b32_e64 v6, v6, v7, s0
	v_add_nc_u32_e32 v7, -1, v5
	v_add_nc_u32_e32 v9, 1, v5
	v_sqrt_f32_e32 v10, v6
	v_fma_f32 v11, -v7, v5, v4
	v_fma_f32 v12, -v9, v5, v4
	v_cmp_ge_f32_e64 s1, 0, v11
	v_cndmask_b32_e64 v5, v5, v7, s1
	v_cmp_lt_f32_e64 s1, 0, v12
	v_add_nc_u32_e32 v7, -1, v10
	v_cndmask_b32_e64 v5, v5, v9, s1
	v_add_nc_u32_e32 v9, 1, v10
	v_fma_f32 v11, -v7, v10, v6
	v_mul_f32_e32 v12, 0x37800000, v5
	v_fma_f32 v13, -v9, v10, v6
	v_cmp_ge_f32_e64 s1, 0, v11
	v_cndmask_b32_e32 v5, v5, v12, vcc_lo
	v_cmp_class_f32_e64 vcc_lo, v4, 0x260
	v_cndmask_b32_e64 v7, v10, v7, s1
	v_cmp_lt_f32_e64 s1, 0, v13
	v_cndmask_b32_e32 v4, v5, v4, vcc_lo
	v_cndmask_b32_e64 v7, v7, v9, s1
	v_cmp_nge_f32_e32 vcc_lo, 1.0, v4
	v_mul_f32_e32 v5, 0x37800000, v7
	v_cndmask_b32_e32 v1, v8, v1, vcc_lo
	v_cmp_class_f32_e64 vcc_lo, v6, 0x260
	v_cndmask_b32_e64 v4, v7, v5, s0
	v_add_f32_e32 v5, 1.0, v1
	v_cndmask_b32_e32 v4, v4, v6, vcc_lo
	v_cmp_nge_f32_e32 vcc_lo, 1.0, v4
	v_cndmask_b32_e32 v1, v5, v1, vcc_lo
	s_cbranch_scc1 .LBB35_82
; %bb.83:
	v_lshl_add_u32 v4, v2, 12, v2
	s_movk_i32 s2, 0x2710
	v_add_nc_u32_e32 v2, 0x7ee55e16, v4
	v_lshrrev_b32_e32 v3, 19, v2
	v_xor3_b32 v2, v2, v3, 0xc761c23c
	v_lshl_add_u32 v2, v2, 5, v2
	v_add_nc_u32_e32 v3, 0xe9f8cc1d, v2
	v_lshl_add_u32 v2, v2, 9, 0xaccf6200
	v_xor_b32_e32 v2, v3, v2
	v_lshlrev_b32_e32 v3, 3, v2
	v_add3_u32 v2, v2, v3, 0xfd7046c5
	v_lshrrev_b32_e32 v3, 16, v2
	v_xor3_b32 v2, v2, v3, 0xb55a4f09
	v_mul_hi_u32 v3, v2, 3
	v_sub_nc_u32_e32 v5, v2, v3
	v_lshrrev_b32_e32 v5, 1, v5
	v_add_nc_u32_e32 v3, v5, v3
	v_lshrrev_b32_e32 v3, 30, v3
	v_mul_lo_u32 v3, 0x7fffffff, v3
	v_sub_nc_u32_e32 v2, v2, v3
	v_max_u32_e32 v3, 1, v2
	v_mov_b32_e32 v2, 0
.LBB35_84:                              ; =>This Inner Loop Header: Depth=1
	v_mul_hi_u32 v5, 0xbc8f1391, v3
	s_add_i32 s2, s2, -2
	s_cmp_lg_u32 s2, 0
	v_lshrrev_b32_e32 v5, 15, v5
	v_mul_u32_u24_e32 v6, 0xadc8, v5
	v_mul_u32_u24_e32 v5, 0xd47, v5
	v_sub_nc_u32_e32 v3, v3, v6
	v_xor_b32_e32 v6, 0x7fffffff, v5
	v_sub_nc_u32_e32 v7, 0, v5
	v_mul_lo_u32 v3, 0xbc8f, v3
	v_cmp_lt_u32_e32 vcc_lo, v3, v5
	v_cndmask_b32_e32 v5, v7, v6, vcc_lo
	v_add_nc_u32_e32 v3, v5, v3
	v_mul_hi_u32 v5, 0xbc8f1391, v3
	v_lshrrev_b32_e32 v5, 15, v5
	v_mul_u32_u24_e32 v6, 0xadc8, v5
	v_mul_u32_u24_e32 v5, 0xd47, v5
	v_sub_nc_u32_e32 v6, v3, v6
	v_xor_b32_e32 v7, 0x7fffffff, v5
	v_sub_nc_u32_e32 v8, 0, v5
	v_add_nc_u32_e32 v3, -1, v3
	v_mul_lo_u32 v6, 0xbc8f, v6
	v_cvt_f32_u32_e32 v3, v3
	v_cmp_lt_u32_e32 vcc_lo, v6, v5
	v_cndmask_b32_e32 v5, v8, v7, vcc_lo
	v_add_nc_u32_e32 v5, v5, v6
	v_mul_hi_u32 v6, 0xbc8f1391, v5
	v_lshrrev_b32_e32 v6, 15, v6
	v_mul_u32_u24_e32 v7, 0xadc8, v6
	v_mul_u32_u24_e32 v6, 0xd47, v6
	v_sub_nc_u32_e32 v7, v5, v7
	v_xor_b32_e32 v8, 0x7fffffff, v6
	v_sub_nc_u32_e32 v9, 0, v6
	v_add_nc_u32_e32 v5, -1, v5
	v_mul_lo_u32 v7, 0xbc8f, v7
	v_cvt_f32_u32_e32 v5, v5
	v_fma_f32 v5, 0x30000000, v5, 0
	v_cmp_lt_u32_e32 vcc_lo, v7, v6
	v_mul_f32_e32 v5, v5, v5
	v_cndmask_b32_e32 v6, v9, v8, vcc_lo
	v_fma_f32 v8, 0x30000000, v3, 0
	v_add_nc_u32_e32 v6, v6, v7
	v_fmac_f32_e32 v5, v8, v8
	v_mul_hi_u32 v7, 0xbc8f1391, v6
	v_mul_f32_e32 v8, 0x4f800000, v5
	v_lshrrev_b32_e32 v3, 15, v7
	v_mul_u32_u24_e32 v7, 0xadc8, v3
	v_mul_u32_u24_e32 v3, 0xd47, v3
	v_sub_nc_u32_e32 v7, v6, v7
	v_xor_b32_e32 v9, 0x7fffffff, v3
	v_sub_nc_u32_e32 v10, 0, v3
	v_add_nc_u32_e32 v6, -1, v6
	v_mul_lo_u32 v7, 0xbc8f, v7
	v_cvt_f32_u32_e32 v6, v6
	v_fma_f32 v6, 0x30000000, v6, 0
	v_cmp_lt_u32_e32 vcc_lo, v7, v3
	v_cndmask_b32_e32 v3, v10, v9, vcc_lo
	v_cmp_gt_f32_e32 vcc_lo, 0xf800000, v5
	v_add_f32_e32 v9, 1.0, v2
	v_add_nc_u32_e32 v3, v3, v7
	v_cndmask_b32_e32 v5, v5, v8, vcc_lo
	v_add_nc_u32_e32 v7, -1, v3
	v_cvt_f32_u32_e32 v7, v7
	v_fma_f32 v7, 0x30000000, v7, 0
	v_mul_f32_e32 v7, v7, v7
	v_fmac_f32_e32 v7, v6, v6
	v_sqrt_f32_e32 v6, v5
	v_mul_f32_e32 v8, 0x4f800000, v7
	v_cmp_gt_f32_e64 s0, 0xf800000, v7
	v_cndmask_b32_e64 v7, v7, v8, s0
	v_add_nc_u32_e32 v8, -1, v6
	v_add_nc_u32_e32 v10, 1, v6
	v_sqrt_f32_e32 v11, v7
	v_fma_f32 v12, -v8, v6, v5
	v_fma_f32 v13, -v10, v6, v5
	v_cmp_ge_f32_e64 s1, 0, v12
	v_cndmask_b32_e64 v6, v6, v8, s1
	v_cmp_lt_f32_e64 s1, 0, v13
	v_add_nc_u32_e32 v8, -1, v11
	v_cndmask_b32_e64 v6, v6, v10, s1
	v_add_nc_u32_e32 v10, 1, v11
	v_fma_f32 v12, -v8, v11, v7
	v_mul_f32_e32 v13, 0x37800000, v6
	v_fma_f32 v14, -v10, v11, v7
	v_cmp_ge_f32_e64 s1, 0, v12
	v_cndmask_b32_e32 v6, v6, v13, vcc_lo
	v_cmp_class_f32_e64 vcc_lo, v5, 0x260
	v_cndmask_b32_e64 v8, v11, v8, s1
	v_cmp_lt_f32_e64 s1, 0, v14
	v_cndmask_b32_e32 v5, v6, v5, vcc_lo
	v_cndmask_b32_e64 v8, v8, v10, s1
	v_cmp_nge_f32_e32 vcc_lo, 1.0, v5
	v_mul_f32_e32 v6, 0x37800000, v8
	v_cndmask_b32_e32 v2, v9, v2, vcc_lo
	v_cmp_class_f32_e64 vcc_lo, v7, 0x260
	v_cndmask_b32_e64 v5, v8, v6, s0
	v_add_f32_e32 v6, 1.0, v2
	v_cndmask_b32_e32 v5, v5, v7, vcc_lo
	v_cmp_nge_f32_e32 vcc_lo, 1.0, v5
	v_cndmask_b32_e32 v2, v6, v2, vcc_lo
	s_cbranch_scc1 .LBB35_84
; %bb.85:
	v_add_nc_u32_e32 v3, 0x7ef55f16, v4
	s_movk_i32 s2, 0x2710
	v_lshrrev_b32_e32 v5, 19, v3
	v_xor3_b32 v3, v3, v5, 0xc761c23c
	v_lshl_add_u32 v3, v3, 5, v3
	v_add_nc_u32_e32 v5, 0xe9f8cc1d, v3
	v_lshl_add_u32 v3, v3, 9, 0xaccf6200
	v_xor_b32_e32 v3, v5, v3
	v_lshlrev_b32_e32 v5, 3, v3
	v_add3_u32 v3, v3, v5, 0xfd7046c5
	v_lshrrev_b32_e32 v5, 16, v3
	v_xor3_b32 v3, v3, v5, 0xb55a4f09
	v_mul_hi_u32 v5, v3, 3
	v_sub_nc_u32_e32 v6, v3, v5
	v_lshrrev_b32_e32 v6, 1, v6
	v_add_nc_u32_e32 v5, v6, v5
	v_lshrrev_b32_e32 v5, 30, v5
	v_mul_lo_u32 v5, 0x7fffffff, v5
	v_sub_nc_u32_e32 v3, v3, v5
	v_max_u32_e32 v5, 1, v3
	v_mov_b32_e32 v3, 0
.LBB35_86:                              ; =>This Inner Loop Header: Depth=1
	v_mul_hi_u32 v6, 0xbc8f1391, v5
	s_add_i32 s2, s2, -2
	s_cmp_lg_u32 s2, 0
	v_lshrrev_b32_e32 v6, 15, v6
	v_mul_u32_u24_e32 v7, 0xadc8, v6
	v_mul_u32_u24_e32 v6, 0xd47, v6
	v_sub_nc_u32_e32 v5, v5, v7
	v_xor_b32_e32 v7, 0x7fffffff, v6
	v_sub_nc_u32_e32 v8, 0, v6
	v_mul_lo_u32 v5, 0xbc8f, v5
	v_cmp_lt_u32_e32 vcc_lo, v5, v6
	v_cndmask_b32_e32 v6, v8, v7, vcc_lo
	v_add_nc_u32_e32 v5, v6, v5
	v_mul_hi_u32 v6, 0xbc8f1391, v5
	v_lshrrev_b32_e32 v6, 15, v6
	v_mul_u32_u24_e32 v7, 0xadc8, v6
	v_mul_u32_u24_e32 v6, 0xd47, v6
	v_sub_nc_u32_e32 v7, v5, v7
	v_xor_b32_e32 v8, 0x7fffffff, v6
	v_sub_nc_u32_e32 v9, 0, v6
	v_add_nc_u32_e32 v5, -1, v5
	v_mul_lo_u32 v7, 0xbc8f, v7
	v_cvt_f32_u32_e32 v5, v5
	v_cmp_lt_u32_e32 vcc_lo, v7, v6
	v_cndmask_b32_e32 v6, v9, v8, vcc_lo
	v_add_nc_u32_e32 v6, v6, v7
	v_mul_hi_u32 v7, 0xbc8f1391, v6
	v_lshrrev_b32_e32 v7, 15, v7
	v_mul_u32_u24_e32 v8, 0xadc8, v7
	v_mul_u32_u24_e32 v7, 0xd47, v7
	v_sub_nc_u32_e32 v8, v6, v8
	v_xor_b32_e32 v9, 0x7fffffff, v7
	v_sub_nc_u32_e32 v10, 0, v7
	v_add_nc_u32_e32 v6, -1, v6
	v_mul_lo_u32 v8, 0xbc8f, v8
	v_cvt_f32_u32_e32 v6, v6
	v_fma_f32 v6, 0x30000000, v6, 0
	v_cmp_lt_u32_e32 vcc_lo, v8, v7
	v_mul_f32_e32 v6, v6, v6
	v_cndmask_b32_e32 v7, v10, v9, vcc_lo
	v_fma_f32 v9, 0x30000000, v5, 0
	v_add_nc_u32_e32 v7, v7, v8
	v_fmac_f32_e32 v6, v9, v9
	v_mul_hi_u32 v8, 0xbc8f1391, v7
	v_mul_f32_e32 v9, 0x4f800000, v6
	v_lshrrev_b32_e32 v5, 15, v8
	v_mul_u32_u24_e32 v8, 0xadc8, v5
	v_mul_u32_u24_e32 v5, 0xd47, v5
	v_sub_nc_u32_e32 v8, v7, v8
	v_xor_b32_e32 v10, 0x7fffffff, v5
	v_sub_nc_u32_e32 v11, 0, v5
	v_add_nc_u32_e32 v7, -1, v7
	v_mul_lo_u32 v8, 0xbc8f, v8
	v_cvt_f32_u32_e32 v7, v7
	v_fma_f32 v7, 0x30000000, v7, 0
	v_cmp_lt_u32_e32 vcc_lo, v8, v5
	v_cndmask_b32_e32 v5, v11, v10, vcc_lo
	v_cmp_gt_f32_e32 vcc_lo, 0xf800000, v6
	v_add_f32_e32 v10, 1.0, v3
	v_add_nc_u32_e32 v5, v5, v8
	v_cndmask_b32_e32 v6, v6, v9, vcc_lo
	v_add_nc_u32_e32 v8, -1, v5
	v_cvt_f32_u32_e32 v8, v8
	v_fma_f32 v8, 0x30000000, v8, 0
	v_mul_f32_e32 v8, v8, v8
	v_fmac_f32_e32 v8, v7, v7
	v_sqrt_f32_e32 v7, v6
	v_mul_f32_e32 v9, 0x4f800000, v8
	v_cmp_gt_f32_e64 s0, 0xf800000, v8
	v_cndmask_b32_e64 v8, v8, v9, s0
	v_add_nc_u32_e32 v9, -1, v7
	v_add_nc_u32_e32 v11, 1, v7
	v_sqrt_f32_e32 v12, v8
	v_fma_f32 v13, -v9, v7, v6
	v_fma_f32 v14, -v11, v7, v6
	v_cmp_ge_f32_e64 s1, 0, v13
	v_cndmask_b32_e64 v7, v7, v9, s1
	v_cmp_lt_f32_e64 s1, 0, v14
	v_add_nc_u32_e32 v9, -1, v12
	v_cndmask_b32_e64 v7, v7, v11, s1
	v_add_nc_u32_e32 v11, 1, v12
	v_fma_f32 v13, -v9, v12, v8
	v_mul_f32_e32 v14, 0x37800000, v7
	v_fma_f32 v15, -v11, v12, v8
	v_cmp_ge_f32_e64 s1, 0, v13
	v_cndmask_b32_e32 v7, v7, v14, vcc_lo
	v_cmp_class_f32_e64 vcc_lo, v6, 0x260
	v_cndmask_b32_e64 v9, v12, v9, s1
	v_cmp_lt_f32_e64 s1, 0, v15
	v_cndmask_b32_e32 v6, v7, v6, vcc_lo
	v_cndmask_b32_e64 v9, v9, v11, s1
	v_cmp_nge_f32_e32 vcc_lo, 1.0, v6
	v_mul_f32_e32 v7, 0x37800000, v9
	v_cndmask_b32_e32 v3, v10, v3, vcc_lo
	v_cmp_class_f32_e64 vcc_lo, v8, 0x260
	v_cndmask_b32_e64 v6, v9, v7, s0
	v_add_f32_e32 v7, 1.0, v3
	v_cndmask_b32_e32 v6, v6, v8, vcc_lo
	v_cmp_nge_f32_e32 vcc_lo, 1.0, v6
	v_cndmask_b32_e32 v3, v7, v3, vcc_lo
	s_cbranch_scc1 .LBB35_86
; %bb.87:
	v_add_nc_u32_e32 v5, 0x7f056016, v4
	s_movk_i32 s2, 0x2710
	v_lshrrev_b32_e32 v6, 19, v5
	v_xor3_b32 v5, v5, v6, 0xc761c23c
	v_lshl_add_u32 v5, v5, 5, v5
	v_add_nc_u32_e32 v6, 0xe9f8cc1d, v5
	v_lshl_add_u32 v5, v5, 9, 0xaccf6200
	v_xor_b32_e32 v5, v6, v5
	v_lshlrev_b32_e32 v6, 3, v5
	v_add3_u32 v5, v5, v6, 0xfd7046c5
	v_lshrrev_b32_e32 v6, 16, v5
	v_xor3_b32 v5, v5, v6, 0xb55a4f09
	v_mul_hi_u32 v6, v5, 3
	v_sub_nc_u32_e32 v7, v5, v6
	v_lshrrev_b32_e32 v7, 1, v7
	v_add_nc_u32_e32 v6, v7, v6
	v_lshrrev_b32_e32 v6, 30, v6
	v_mul_lo_u32 v6, 0x7fffffff, v6
	v_sub_nc_u32_e32 v5, v5, v6
	v_max_u32_e32 v6, 1, v5
	v_mov_b32_e32 v5, 0
.LBB35_88:                              ; =>This Inner Loop Header: Depth=1
	v_mul_hi_u32 v7, 0xbc8f1391, v6
	s_add_i32 s2, s2, -2
	s_cmp_lg_u32 s2, 0
	v_lshrrev_b32_e32 v7, 15, v7
	v_mul_u32_u24_e32 v8, 0xadc8, v7
	v_mul_u32_u24_e32 v7, 0xd47, v7
	v_sub_nc_u32_e32 v6, v6, v8
	v_xor_b32_e32 v8, 0x7fffffff, v7
	v_sub_nc_u32_e32 v9, 0, v7
	v_mul_lo_u32 v6, 0xbc8f, v6
	v_cmp_lt_u32_e32 vcc_lo, v6, v7
	v_cndmask_b32_e32 v7, v9, v8, vcc_lo
	v_add_nc_u32_e32 v6, v7, v6
	v_mul_hi_u32 v7, 0xbc8f1391, v6
	v_lshrrev_b32_e32 v7, 15, v7
	v_mul_u32_u24_e32 v8, 0xadc8, v7
	v_mul_u32_u24_e32 v7, 0xd47, v7
	v_sub_nc_u32_e32 v8, v6, v8
	v_xor_b32_e32 v9, 0x7fffffff, v7
	v_sub_nc_u32_e32 v10, 0, v7
	v_add_nc_u32_e32 v6, -1, v6
	v_mul_lo_u32 v8, 0xbc8f, v8
	v_cvt_f32_u32_e32 v6, v6
	v_cmp_lt_u32_e32 vcc_lo, v8, v7
	v_cndmask_b32_e32 v7, v10, v9, vcc_lo
	v_add_nc_u32_e32 v7, v7, v8
	v_mul_hi_u32 v8, 0xbc8f1391, v7
	v_lshrrev_b32_e32 v8, 15, v8
	v_mul_u32_u24_e32 v9, 0xadc8, v8
	v_mul_u32_u24_e32 v8, 0xd47, v8
	v_sub_nc_u32_e32 v9, v7, v9
	v_xor_b32_e32 v10, 0x7fffffff, v8
	v_sub_nc_u32_e32 v11, 0, v8
	v_add_nc_u32_e32 v7, -1, v7
	v_mul_lo_u32 v9, 0xbc8f, v9
	v_cvt_f32_u32_e32 v7, v7
	v_fma_f32 v7, 0x30000000, v7, 0
	v_cmp_lt_u32_e32 vcc_lo, v9, v8
	v_mul_f32_e32 v7, v7, v7
	v_cndmask_b32_e32 v8, v11, v10, vcc_lo
	v_fma_f32 v10, 0x30000000, v6, 0
	v_add_nc_u32_e32 v8, v8, v9
	v_fmac_f32_e32 v7, v10, v10
	v_mul_hi_u32 v9, 0xbc8f1391, v8
	v_mul_f32_e32 v10, 0x4f800000, v7
	v_lshrrev_b32_e32 v6, 15, v9
	v_mul_u32_u24_e32 v9, 0xadc8, v6
	v_mul_u32_u24_e32 v6, 0xd47, v6
	v_sub_nc_u32_e32 v9, v8, v9
	v_xor_b32_e32 v11, 0x7fffffff, v6
	v_sub_nc_u32_e32 v12, 0, v6
	v_add_nc_u32_e32 v8, -1, v8
	v_mul_lo_u32 v9, 0xbc8f, v9
	v_cvt_f32_u32_e32 v8, v8
	v_fma_f32 v8, 0x30000000, v8, 0
	v_cmp_lt_u32_e32 vcc_lo, v9, v6
	v_cndmask_b32_e32 v6, v12, v11, vcc_lo
	v_cmp_gt_f32_e32 vcc_lo, 0xf800000, v7
	v_add_f32_e32 v11, 1.0, v5
	v_add_nc_u32_e32 v6, v6, v9
	v_cndmask_b32_e32 v7, v7, v10, vcc_lo
	v_add_nc_u32_e32 v9, -1, v6
	v_cvt_f32_u32_e32 v9, v9
	v_fma_f32 v9, 0x30000000, v9, 0
	v_mul_f32_e32 v9, v9, v9
	v_fmac_f32_e32 v9, v8, v8
	v_sqrt_f32_e32 v8, v7
	v_mul_f32_e32 v10, 0x4f800000, v9
	v_cmp_gt_f32_e64 s0, 0xf800000, v9
	v_cndmask_b32_e64 v9, v9, v10, s0
	v_add_nc_u32_e32 v10, -1, v8
	v_add_nc_u32_e32 v12, 1, v8
	v_sqrt_f32_e32 v13, v9
	v_fma_f32 v14, -v10, v8, v7
	v_fma_f32 v15, -v12, v8, v7
	v_cmp_ge_f32_e64 s1, 0, v14
	v_cndmask_b32_e64 v8, v8, v10, s1
	v_cmp_lt_f32_e64 s1, 0, v15
	v_add_nc_u32_e32 v10, -1, v13
	v_cndmask_b32_e64 v8, v8, v12, s1
	v_add_nc_u32_e32 v12, 1, v13
	v_fma_f32 v14, -v10, v13, v9
	v_mul_f32_e32 v15, 0x37800000, v8
	v_fma_f32 v16, -v12, v13, v9
	v_cmp_ge_f32_e64 s1, 0, v14
	v_cndmask_b32_e32 v8, v8, v15, vcc_lo
	v_cmp_class_f32_e64 vcc_lo, v7, 0x260
	v_cndmask_b32_e64 v10, v13, v10, s1
	v_cmp_lt_f32_e64 s1, 0, v16
	v_cndmask_b32_e32 v7, v8, v7, vcc_lo
	v_cndmask_b32_e64 v10, v10, v12, s1
	v_cmp_nge_f32_e32 vcc_lo, 1.0, v7
	v_mul_f32_e32 v8, 0x37800000, v10
	v_cndmask_b32_e32 v5, v11, v5, vcc_lo
	v_cmp_class_f32_e64 vcc_lo, v9, 0x260
	v_cndmask_b32_e64 v7, v10, v8, s0
	v_add_f32_e32 v8, 1.0, v5
	v_cndmask_b32_e32 v7, v7, v9, vcc_lo
	v_cmp_nge_f32_e32 vcc_lo, 1.0, v7
	v_cndmask_b32_e32 v5, v8, v5, vcc_lo
	s_cbranch_scc1 .LBB35_88
; %bb.89:
	v_add_nc_u32_e32 v6, 0x7f156116, v4
	s_movk_i32 s2, 0x2710
	v_lshrrev_b32_e32 v7, 19, v6
	v_xor3_b32 v6, v6, v7, 0xc761c23c
	v_lshl_add_u32 v6, v6, 5, v6
	v_add_nc_u32_e32 v7, 0xe9f8cc1d, v6
	v_lshl_add_u32 v6, v6, 9, 0xaccf6200
	v_xor_b32_e32 v6, v7, v6
	v_lshlrev_b32_e32 v7, 3, v6
	v_add3_u32 v6, v6, v7, 0xfd7046c5
	v_lshrrev_b32_e32 v7, 16, v6
	v_xor3_b32 v6, v6, v7, 0xb55a4f09
	v_mul_hi_u32 v7, v6, 3
	v_sub_nc_u32_e32 v8, v6, v7
	v_lshrrev_b32_e32 v8, 1, v8
	v_add_nc_u32_e32 v7, v8, v7
	v_lshrrev_b32_e32 v7, 30, v7
	v_mul_lo_u32 v7, 0x7fffffff, v7
	v_sub_nc_u32_e32 v6, v6, v7
	v_max_u32_e32 v7, 1, v6
	v_mov_b32_e32 v6, 0
.LBB35_90:                              ; =>This Inner Loop Header: Depth=1
	v_mul_hi_u32 v8, 0xbc8f1391, v7
	s_add_i32 s2, s2, -2
	s_cmp_lg_u32 s2, 0
	v_lshrrev_b32_e32 v8, 15, v8
	v_mul_u32_u24_e32 v9, 0xadc8, v8
	v_mul_u32_u24_e32 v8, 0xd47, v8
	v_sub_nc_u32_e32 v7, v7, v9
	v_xor_b32_e32 v9, 0x7fffffff, v8
	v_sub_nc_u32_e32 v10, 0, v8
	v_mul_lo_u32 v7, 0xbc8f, v7
	v_cmp_lt_u32_e32 vcc_lo, v7, v8
	v_cndmask_b32_e32 v8, v10, v9, vcc_lo
	v_add_nc_u32_e32 v7, v8, v7
	v_mul_hi_u32 v8, 0xbc8f1391, v7
	v_lshrrev_b32_e32 v8, 15, v8
	v_mul_u32_u24_e32 v9, 0xadc8, v8
	v_mul_u32_u24_e32 v8, 0xd47, v8
	v_sub_nc_u32_e32 v9, v7, v9
	v_xor_b32_e32 v10, 0x7fffffff, v8
	v_sub_nc_u32_e32 v11, 0, v8
	v_add_nc_u32_e32 v7, -1, v7
	v_mul_lo_u32 v9, 0xbc8f, v9
	v_cvt_f32_u32_e32 v7, v7
	v_cmp_lt_u32_e32 vcc_lo, v9, v8
	v_cndmask_b32_e32 v8, v11, v10, vcc_lo
	v_add_nc_u32_e32 v8, v8, v9
	v_mul_hi_u32 v9, 0xbc8f1391, v8
	v_lshrrev_b32_e32 v9, 15, v9
	v_mul_u32_u24_e32 v10, 0xadc8, v9
	v_mul_u32_u24_e32 v9, 0xd47, v9
	v_sub_nc_u32_e32 v10, v8, v10
	v_xor_b32_e32 v11, 0x7fffffff, v9
	v_sub_nc_u32_e32 v12, 0, v9
	v_add_nc_u32_e32 v8, -1, v8
	v_mul_lo_u32 v10, 0xbc8f, v10
	v_cvt_f32_u32_e32 v8, v8
	v_fma_f32 v8, 0x30000000, v8, 0
	v_cmp_lt_u32_e32 vcc_lo, v10, v9
	v_mul_f32_e32 v8, v8, v8
	v_cndmask_b32_e32 v9, v12, v11, vcc_lo
	v_fma_f32 v11, 0x30000000, v7, 0
	v_add_nc_u32_e32 v9, v9, v10
	v_fmac_f32_e32 v8, v11, v11
	v_mul_hi_u32 v10, 0xbc8f1391, v9
	v_mul_f32_e32 v11, 0x4f800000, v8
	v_lshrrev_b32_e32 v7, 15, v10
	v_mul_u32_u24_e32 v10, 0xadc8, v7
	v_mul_u32_u24_e32 v7, 0xd47, v7
	v_sub_nc_u32_e32 v10, v9, v10
	v_xor_b32_e32 v12, 0x7fffffff, v7
	v_sub_nc_u32_e32 v13, 0, v7
	v_add_nc_u32_e32 v9, -1, v9
	v_mul_lo_u32 v10, 0xbc8f, v10
	v_cvt_f32_u32_e32 v9, v9
	v_fma_f32 v9, 0x30000000, v9, 0
	v_cmp_lt_u32_e32 vcc_lo, v10, v7
	v_cndmask_b32_e32 v7, v13, v12, vcc_lo
	v_cmp_gt_f32_e32 vcc_lo, 0xf800000, v8
	v_add_f32_e32 v12, 1.0, v6
	v_add_nc_u32_e32 v7, v7, v10
	v_cndmask_b32_e32 v8, v8, v11, vcc_lo
	v_add_nc_u32_e32 v10, -1, v7
	v_cvt_f32_u32_e32 v10, v10
	v_fma_f32 v10, 0x30000000, v10, 0
	v_mul_f32_e32 v10, v10, v10
	v_fmac_f32_e32 v10, v9, v9
	v_sqrt_f32_e32 v9, v8
	v_mul_f32_e32 v11, 0x4f800000, v10
	v_cmp_gt_f32_e64 s0, 0xf800000, v10
	v_cndmask_b32_e64 v10, v10, v11, s0
	v_add_nc_u32_e32 v11, -1, v9
	v_add_nc_u32_e32 v13, 1, v9
	v_sqrt_f32_e32 v14, v10
	v_fma_f32 v15, -v11, v9, v8
	v_fma_f32 v16, -v13, v9, v8
	v_cmp_ge_f32_e64 s1, 0, v15
	v_cndmask_b32_e64 v9, v9, v11, s1
	v_cmp_lt_f32_e64 s1, 0, v16
	v_add_nc_u32_e32 v11, -1, v14
	v_cndmask_b32_e64 v9, v9, v13, s1
	v_add_nc_u32_e32 v13, 1, v14
	v_fma_f32 v15, -v11, v14, v10
	v_mul_f32_e32 v16, 0x37800000, v9
	v_fma_f32 v17, -v13, v14, v10
	v_cmp_ge_f32_e64 s1, 0, v15
	v_cndmask_b32_e32 v9, v9, v16, vcc_lo
	v_cmp_class_f32_e64 vcc_lo, v8, 0x260
	v_cndmask_b32_e64 v11, v14, v11, s1
	v_cmp_lt_f32_e64 s1, 0, v17
	v_cndmask_b32_e32 v8, v9, v8, vcc_lo
	v_cndmask_b32_e64 v11, v11, v13, s1
	v_cmp_nge_f32_e32 vcc_lo, 1.0, v8
	v_mul_f32_e32 v9, 0x37800000, v11
	v_cndmask_b32_e32 v6, v12, v6, vcc_lo
	v_cmp_class_f32_e64 vcc_lo, v10, 0x260
	v_cndmask_b32_e64 v8, v11, v9, s0
	v_add_f32_e32 v9, 1.0, v6
	v_cndmask_b32_e32 v8, v8, v10, vcc_lo
	v_cmp_nge_f32_e32 vcc_lo, 1.0, v8
	v_cndmask_b32_e32 v6, v9, v6, vcc_lo
	s_cbranch_scc1 .LBB35_90
; %bb.91:
	v_add_nc_u32_e32 v7, 0x7f256216, v4
	s_movk_i32 s2, 0x2710
	v_lshrrev_b32_e32 v8, 19, v7
	v_xor3_b32 v7, v7, v8, 0xc761c23c
	v_lshl_add_u32 v7, v7, 5, v7
	v_add_nc_u32_e32 v8, 0xe9f8cc1d, v7
	v_lshl_add_u32 v7, v7, 9, 0xaccf6200
	v_xor_b32_e32 v7, v8, v7
	v_lshlrev_b32_e32 v8, 3, v7
	v_add3_u32 v7, v7, v8, 0xfd7046c5
	v_lshrrev_b32_e32 v8, 16, v7
	v_xor3_b32 v7, v7, v8, 0xb55a4f09
	v_mul_hi_u32 v8, v7, 3
	v_sub_nc_u32_e32 v9, v7, v8
	v_lshrrev_b32_e32 v9, 1, v9
	v_add_nc_u32_e32 v8, v9, v8
	v_lshrrev_b32_e32 v8, 30, v8
	v_mul_lo_u32 v8, 0x7fffffff, v8
	v_sub_nc_u32_e32 v7, v7, v8
	v_max_u32_e32 v8, 1, v7
	v_mov_b32_e32 v7, 0
.LBB35_92:                              ; =>This Inner Loop Header: Depth=1
	v_mul_hi_u32 v9, 0xbc8f1391, v8
	s_add_i32 s2, s2, -2
	s_cmp_lg_u32 s2, 0
	v_lshrrev_b32_e32 v9, 15, v9
	v_mul_u32_u24_e32 v10, 0xadc8, v9
	v_mul_u32_u24_e32 v9, 0xd47, v9
	v_sub_nc_u32_e32 v8, v8, v10
	v_xor_b32_e32 v10, 0x7fffffff, v9
	v_sub_nc_u32_e32 v11, 0, v9
	v_mul_lo_u32 v8, 0xbc8f, v8
	v_cmp_lt_u32_e32 vcc_lo, v8, v9
	v_cndmask_b32_e32 v9, v11, v10, vcc_lo
	v_add_nc_u32_e32 v8, v9, v8
	v_mul_hi_u32 v9, 0xbc8f1391, v8
	v_lshrrev_b32_e32 v9, 15, v9
	v_mul_u32_u24_e32 v10, 0xadc8, v9
	v_mul_u32_u24_e32 v9, 0xd47, v9
	v_sub_nc_u32_e32 v10, v8, v10
	v_xor_b32_e32 v11, 0x7fffffff, v9
	v_sub_nc_u32_e32 v12, 0, v9
	v_add_nc_u32_e32 v8, -1, v8
	v_mul_lo_u32 v10, 0xbc8f, v10
	v_cvt_f32_u32_e32 v8, v8
	v_cmp_lt_u32_e32 vcc_lo, v10, v9
	v_cndmask_b32_e32 v9, v12, v11, vcc_lo
	v_add_nc_u32_e32 v9, v9, v10
	v_mul_hi_u32 v10, 0xbc8f1391, v9
	v_lshrrev_b32_e32 v10, 15, v10
	v_mul_u32_u24_e32 v11, 0xadc8, v10
	v_mul_u32_u24_e32 v10, 0xd47, v10
	v_sub_nc_u32_e32 v11, v9, v11
	v_xor_b32_e32 v12, 0x7fffffff, v10
	v_sub_nc_u32_e32 v13, 0, v10
	v_add_nc_u32_e32 v9, -1, v9
	v_mul_lo_u32 v11, 0xbc8f, v11
	v_cvt_f32_u32_e32 v9, v9
	v_fma_f32 v9, 0x30000000, v9, 0
	v_cmp_lt_u32_e32 vcc_lo, v11, v10
	v_mul_f32_e32 v9, v9, v9
	v_cndmask_b32_e32 v10, v13, v12, vcc_lo
	v_fma_f32 v12, 0x30000000, v8, 0
	v_add_nc_u32_e32 v10, v10, v11
	v_fmac_f32_e32 v9, v12, v12
	v_mul_hi_u32 v11, 0xbc8f1391, v10
	v_mul_f32_e32 v12, 0x4f800000, v9
	v_lshrrev_b32_e32 v8, 15, v11
	v_mul_u32_u24_e32 v11, 0xadc8, v8
	v_mul_u32_u24_e32 v8, 0xd47, v8
	v_sub_nc_u32_e32 v11, v10, v11
	v_xor_b32_e32 v13, 0x7fffffff, v8
	v_sub_nc_u32_e32 v14, 0, v8
	v_add_nc_u32_e32 v10, -1, v10
	v_mul_lo_u32 v11, 0xbc8f, v11
	v_cvt_f32_u32_e32 v10, v10
	v_fma_f32 v10, 0x30000000, v10, 0
	v_cmp_lt_u32_e32 vcc_lo, v11, v8
	v_cndmask_b32_e32 v8, v14, v13, vcc_lo
	v_cmp_gt_f32_e32 vcc_lo, 0xf800000, v9
	v_add_f32_e32 v13, 1.0, v7
	v_add_nc_u32_e32 v8, v8, v11
	v_cndmask_b32_e32 v9, v9, v12, vcc_lo
	v_add_nc_u32_e32 v11, -1, v8
	v_cvt_f32_u32_e32 v11, v11
	v_fma_f32 v11, 0x30000000, v11, 0
	v_mul_f32_e32 v11, v11, v11
	v_fmac_f32_e32 v11, v10, v10
	v_sqrt_f32_e32 v10, v9
	v_mul_f32_e32 v12, 0x4f800000, v11
	v_cmp_gt_f32_e64 s0, 0xf800000, v11
	v_cndmask_b32_e64 v11, v11, v12, s0
	v_add_nc_u32_e32 v12, -1, v10
	v_add_nc_u32_e32 v14, 1, v10
	v_sqrt_f32_e32 v15, v11
	v_fma_f32 v16, -v12, v10, v9
	v_fma_f32 v17, -v14, v10, v9
	v_cmp_ge_f32_e64 s1, 0, v16
	v_cndmask_b32_e64 v10, v10, v12, s1
	v_cmp_lt_f32_e64 s1, 0, v17
	v_add_nc_u32_e32 v12, -1, v15
	v_cndmask_b32_e64 v10, v10, v14, s1
	v_add_nc_u32_e32 v14, 1, v15
	v_fma_f32 v16, -v12, v15, v11
	v_mul_f32_e32 v17, 0x37800000, v10
	v_fma_f32 v18, -v14, v15, v11
	v_cmp_ge_f32_e64 s1, 0, v16
	v_cndmask_b32_e32 v10, v10, v17, vcc_lo
	v_cmp_class_f32_e64 vcc_lo, v9, 0x260
	v_cndmask_b32_e64 v12, v15, v12, s1
	v_cmp_lt_f32_e64 s1, 0, v18
	v_cndmask_b32_e32 v9, v10, v9, vcc_lo
	v_cndmask_b32_e64 v12, v12, v14, s1
	v_cmp_nge_f32_e32 vcc_lo, 1.0, v9
	v_mul_f32_e32 v10, 0x37800000, v12
	v_cndmask_b32_e32 v7, v13, v7, vcc_lo
	v_cmp_class_f32_e64 vcc_lo, v11, 0x260
	v_cndmask_b32_e64 v9, v12, v10, s0
	v_add_f32_e32 v10, 1.0, v7
	v_cndmask_b32_e32 v9, v9, v11, vcc_lo
	v_cmp_nge_f32_e32 vcc_lo, 1.0, v9
	v_cndmask_b32_e32 v7, v10, v7, vcc_lo
	s_cbranch_scc1 .LBB35_92
; %bb.93:
	v_add_nc_u32_e32 v8, 0x7f356316, v4
	s_movk_i32 s2, 0x2710
	v_lshrrev_b32_e32 v9, 19, v8
	v_xor3_b32 v8, v8, v9, 0xc761c23c
	v_lshl_add_u32 v8, v8, 5, v8
	v_add_nc_u32_e32 v9, 0xe9f8cc1d, v8
	v_lshl_add_u32 v8, v8, 9, 0xaccf6200
	v_xor_b32_e32 v8, v9, v8
	v_lshlrev_b32_e32 v9, 3, v8
	v_add3_u32 v8, v8, v9, 0xfd7046c5
	v_lshrrev_b32_e32 v9, 16, v8
	v_xor3_b32 v8, v8, v9, 0xb55a4f09
	v_mul_hi_u32 v9, v8, 3
	v_sub_nc_u32_e32 v10, v8, v9
	v_lshrrev_b32_e32 v10, 1, v10
	v_add_nc_u32_e32 v9, v10, v9
	v_lshrrev_b32_e32 v9, 30, v9
	v_mul_lo_u32 v9, 0x7fffffff, v9
	v_sub_nc_u32_e32 v8, v8, v9
	v_max_u32_e32 v9, 1, v8
	v_mov_b32_e32 v8, 0
.LBB35_94:                              ; =>This Inner Loop Header: Depth=1
	v_mul_hi_u32 v10, 0xbc8f1391, v9
	s_add_i32 s2, s2, -2
	s_cmp_lg_u32 s2, 0
	v_lshrrev_b32_e32 v10, 15, v10
	v_mul_u32_u24_e32 v11, 0xadc8, v10
	v_mul_u32_u24_e32 v10, 0xd47, v10
	v_sub_nc_u32_e32 v9, v9, v11
	v_xor_b32_e32 v11, 0x7fffffff, v10
	v_sub_nc_u32_e32 v12, 0, v10
	v_mul_lo_u32 v9, 0xbc8f, v9
	v_cmp_lt_u32_e32 vcc_lo, v9, v10
	v_cndmask_b32_e32 v10, v12, v11, vcc_lo
	v_add_nc_u32_e32 v9, v10, v9
	v_mul_hi_u32 v10, 0xbc8f1391, v9
	v_lshrrev_b32_e32 v10, 15, v10
	v_mul_u32_u24_e32 v11, 0xadc8, v10
	v_mul_u32_u24_e32 v10, 0xd47, v10
	v_sub_nc_u32_e32 v11, v9, v11
	v_xor_b32_e32 v12, 0x7fffffff, v10
	v_sub_nc_u32_e32 v13, 0, v10
	v_add_nc_u32_e32 v9, -1, v9
	v_mul_lo_u32 v11, 0xbc8f, v11
	v_cvt_f32_u32_e32 v9, v9
	v_cmp_lt_u32_e32 vcc_lo, v11, v10
	v_cndmask_b32_e32 v10, v13, v12, vcc_lo
	v_add_nc_u32_e32 v10, v10, v11
	v_mul_hi_u32 v11, 0xbc8f1391, v10
	v_lshrrev_b32_e32 v11, 15, v11
	v_mul_u32_u24_e32 v12, 0xadc8, v11
	v_mul_u32_u24_e32 v11, 0xd47, v11
	v_sub_nc_u32_e32 v12, v10, v12
	v_xor_b32_e32 v13, 0x7fffffff, v11
	v_sub_nc_u32_e32 v14, 0, v11
	v_add_nc_u32_e32 v10, -1, v10
	v_mul_lo_u32 v12, 0xbc8f, v12
	v_cvt_f32_u32_e32 v10, v10
	v_fma_f32 v10, 0x30000000, v10, 0
	v_cmp_lt_u32_e32 vcc_lo, v12, v11
	v_mul_f32_e32 v10, v10, v10
	v_cndmask_b32_e32 v11, v14, v13, vcc_lo
	v_fma_f32 v13, 0x30000000, v9, 0
	v_add_nc_u32_e32 v11, v11, v12
	v_fmac_f32_e32 v10, v13, v13
	v_mul_hi_u32 v12, 0xbc8f1391, v11
	v_mul_f32_e32 v13, 0x4f800000, v10
	v_lshrrev_b32_e32 v9, 15, v12
	v_mul_u32_u24_e32 v12, 0xadc8, v9
	v_mul_u32_u24_e32 v9, 0xd47, v9
	v_sub_nc_u32_e32 v12, v11, v12
	v_xor_b32_e32 v14, 0x7fffffff, v9
	v_sub_nc_u32_e32 v15, 0, v9
	v_add_nc_u32_e32 v11, -1, v11
	v_mul_lo_u32 v12, 0xbc8f, v12
	v_cvt_f32_u32_e32 v11, v11
	v_fma_f32 v11, 0x30000000, v11, 0
	v_cmp_lt_u32_e32 vcc_lo, v12, v9
	v_cndmask_b32_e32 v9, v15, v14, vcc_lo
	v_cmp_gt_f32_e32 vcc_lo, 0xf800000, v10
	v_add_f32_e32 v14, 1.0, v8
	v_add_nc_u32_e32 v9, v9, v12
	v_cndmask_b32_e32 v10, v10, v13, vcc_lo
	v_add_nc_u32_e32 v12, -1, v9
	v_cvt_f32_u32_e32 v12, v12
	v_fma_f32 v12, 0x30000000, v12, 0
	v_mul_f32_e32 v12, v12, v12
	v_fmac_f32_e32 v12, v11, v11
	v_sqrt_f32_e32 v11, v10
	v_mul_f32_e32 v13, 0x4f800000, v12
	v_cmp_gt_f32_e64 s0, 0xf800000, v12
	v_cndmask_b32_e64 v12, v12, v13, s0
	v_add_nc_u32_e32 v13, -1, v11
	v_add_nc_u32_e32 v15, 1, v11
	v_sqrt_f32_e32 v16, v12
	v_fma_f32 v17, -v13, v11, v10
	v_fma_f32 v18, -v15, v11, v10
	v_cmp_ge_f32_e64 s1, 0, v17
	v_cndmask_b32_e64 v11, v11, v13, s1
	v_cmp_lt_f32_e64 s1, 0, v18
	v_add_nc_u32_e32 v13, -1, v16
	v_cndmask_b32_e64 v11, v11, v15, s1
	v_add_nc_u32_e32 v15, 1, v16
	v_fma_f32 v17, -v13, v16, v12
	v_mul_f32_e32 v18, 0x37800000, v11
	v_fma_f32 v19, -v15, v16, v12
	v_cmp_ge_f32_e64 s1, 0, v17
	v_cndmask_b32_e32 v11, v11, v18, vcc_lo
	v_cmp_class_f32_e64 vcc_lo, v10, 0x260
	v_cndmask_b32_e64 v13, v16, v13, s1
	v_cmp_lt_f32_e64 s1, 0, v19
	v_cndmask_b32_e32 v10, v11, v10, vcc_lo
	v_cndmask_b32_e64 v13, v13, v15, s1
	v_cmp_nge_f32_e32 vcc_lo, 1.0, v10
	v_mul_f32_e32 v11, 0x37800000, v13
	v_cndmask_b32_e32 v8, v14, v8, vcc_lo
	v_cmp_class_f32_e64 vcc_lo, v12, 0x260
	v_cndmask_b32_e64 v10, v13, v11, s0
	v_add_f32_e32 v11, 1.0, v8
	v_cndmask_b32_e32 v10, v10, v12, vcc_lo
	v_cmp_nge_f32_e32 vcc_lo, 1.0, v10
	v_cndmask_b32_e32 v8, v11, v8, vcc_lo
	s_cbranch_scc1 .LBB35_94
; %bb.95:
	v_add_nc_u32_e32 v9, 0x7f456416, v4
	s_movk_i32 s2, 0x2710
	v_lshrrev_b32_e32 v10, 19, v9
	v_xor3_b32 v9, v9, v10, 0xc761c23c
	v_lshl_add_u32 v9, v9, 5, v9
	v_add_nc_u32_e32 v10, 0xe9f8cc1d, v9
	v_lshl_add_u32 v9, v9, 9, 0xaccf6200
	v_xor_b32_e32 v9, v10, v9
	v_lshlrev_b32_e32 v10, 3, v9
	v_add3_u32 v9, v9, v10, 0xfd7046c5
	v_lshrrev_b32_e32 v10, 16, v9
	v_xor3_b32 v9, v9, v10, 0xb55a4f09
	v_mul_hi_u32 v10, v9, 3
	v_sub_nc_u32_e32 v11, v9, v10
	v_lshrrev_b32_e32 v11, 1, v11
	v_add_nc_u32_e32 v10, v11, v10
	v_lshrrev_b32_e32 v10, 30, v10
	v_mul_lo_u32 v10, 0x7fffffff, v10
	v_sub_nc_u32_e32 v9, v9, v10
	v_max_u32_e32 v10, 1, v9
	v_mov_b32_e32 v9, 0
.LBB35_96:                              ; =>This Inner Loop Header: Depth=1
	v_mul_hi_u32 v11, 0xbc8f1391, v10
	s_add_i32 s2, s2, -2
	s_cmp_lg_u32 s2, 0
	v_lshrrev_b32_e32 v11, 15, v11
	v_mul_u32_u24_e32 v12, 0xadc8, v11
	v_mul_u32_u24_e32 v11, 0xd47, v11
	v_sub_nc_u32_e32 v10, v10, v12
	v_xor_b32_e32 v12, 0x7fffffff, v11
	v_sub_nc_u32_e32 v13, 0, v11
	v_mul_lo_u32 v10, 0xbc8f, v10
	v_cmp_lt_u32_e32 vcc_lo, v10, v11
	v_cndmask_b32_e32 v11, v13, v12, vcc_lo
	v_add_nc_u32_e32 v10, v11, v10
	v_mul_hi_u32 v11, 0xbc8f1391, v10
	v_lshrrev_b32_e32 v11, 15, v11
	v_mul_u32_u24_e32 v12, 0xadc8, v11
	v_mul_u32_u24_e32 v11, 0xd47, v11
	v_sub_nc_u32_e32 v12, v10, v12
	v_xor_b32_e32 v13, 0x7fffffff, v11
	v_sub_nc_u32_e32 v14, 0, v11
	v_add_nc_u32_e32 v10, -1, v10
	v_mul_lo_u32 v12, 0xbc8f, v12
	v_cvt_f32_u32_e32 v10, v10
	v_cmp_lt_u32_e32 vcc_lo, v12, v11
	v_cndmask_b32_e32 v11, v14, v13, vcc_lo
	v_add_nc_u32_e32 v11, v11, v12
	v_mul_hi_u32 v12, 0xbc8f1391, v11
	v_lshrrev_b32_e32 v12, 15, v12
	v_mul_u32_u24_e32 v13, 0xadc8, v12
	v_mul_u32_u24_e32 v12, 0xd47, v12
	v_sub_nc_u32_e32 v13, v11, v13
	v_xor_b32_e32 v14, 0x7fffffff, v12
	v_sub_nc_u32_e32 v15, 0, v12
	v_add_nc_u32_e32 v11, -1, v11
	v_mul_lo_u32 v13, 0xbc8f, v13
	v_cvt_f32_u32_e32 v11, v11
	v_fma_f32 v11, 0x30000000, v11, 0
	v_cmp_lt_u32_e32 vcc_lo, v13, v12
	v_mul_f32_e32 v11, v11, v11
	v_cndmask_b32_e32 v12, v15, v14, vcc_lo
	v_fma_f32 v14, 0x30000000, v10, 0
	v_add_nc_u32_e32 v12, v12, v13
	v_fmac_f32_e32 v11, v14, v14
	v_mul_hi_u32 v13, 0xbc8f1391, v12
	v_mul_f32_e32 v14, 0x4f800000, v11
	v_lshrrev_b32_e32 v10, 15, v13
	v_mul_u32_u24_e32 v13, 0xadc8, v10
	v_mul_u32_u24_e32 v10, 0xd47, v10
	v_sub_nc_u32_e32 v13, v12, v13
	v_xor_b32_e32 v15, 0x7fffffff, v10
	v_sub_nc_u32_e32 v16, 0, v10
	v_add_nc_u32_e32 v12, -1, v12
	v_mul_lo_u32 v13, 0xbc8f, v13
	v_cvt_f32_u32_e32 v12, v12
	v_fma_f32 v12, 0x30000000, v12, 0
	v_cmp_lt_u32_e32 vcc_lo, v13, v10
	v_cndmask_b32_e32 v10, v16, v15, vcc_lo
	v_cmp_gt_f32_e32 vcc_lo, 0xf800000, v11
	v_add_f32_e32 v15, 1.0, v9
	v_add_nc_u32_e32 v10, v10, v13
	v_cndmask_b32_e32 v11, v11, v14, vcc_lo
	v_add_nc_u32_e32 v13, -1, v10
	v_cvt_f32_u32_e32 v13, v13
	v_fma_f32 v13, 0x30000000, v13, 0
	v_mul_f32_e32 v13, v13, v13
	v_fmac_f32_e32 v13, v12, v12
	v_sqrt_f32_e32 v12, v11
	v_mul_f32_e32 v14, 0x4f800000, v13
	v_cmp_gt_f32_e64 s0, 0xf800000, v13
	v_cndmask_b32_e64 v13, v13, v14, s0
	v_add_nc_u32_e32 v14, -1, v12
	v_add_nc_u32_e32 v16, 1, v12
	v_sqrt_f32_e32 v17, v13
	v_fma_f32 v18, -v14, v12, v11
	v_fma_f32 v19, -v16, v12, v11
	v_cmp_ge_f32_e64 s1, 0, v18
	v_cndmask_b32_e64 v12, v12, v14, s1
	v_cmp_lt_f32_e64 s1, 0, v19
	v_add_nc_u32_e32 v14, -1, v17
	v_cndmask_b32_e64 v12, v12, v16, s1
	v_add_nc_u32_e32 v16, 1, v17
	v_fma_f32 v18, -v14, v17, v13
	v_mul_f32_e32 v19, 0x37800000, v12
	v_fma_f32 v20, -v16, v17, v13
	v_cmp_ge_f32_e64 s1, 0, v18
	v_cndmask_b32_e32 v12, v12, v19, vcc_lo
	v_cmp_class_f32_e64 vcc_lo, v11, 0x260
	v_cndmask_b32_e64 v14, v17, v14, s1
	v_cmp_lt_f32_e64 s1, 0, v20
	v_cndmask_b32_e32 v11, v12, v11, vcc_lo
	v_cndmask_b32_e64 v14, v14, v16, s1
	v_cmp_nge_f32_e32 vcc_lo, 1.0, v11
	v_mul_f32_e32 v12, 0x37800000, v14
	v_cndmask_b32_e32 v9, v15, v9, vcc_lo
	v_cmp_class_f32_e64 vcc_lo, v13, 0x260
	v_cndmask_b32_e64 v11, v14, v12, s0
	v_add_f32_e32 v12, 1.0, v9
	v_cndmask_b32_e32 v11, v11, v13, vcc_lo
	v_cmp_nge_f32_e32 vcc_lo, 1.0, v11
	v_cndmask_b32_e32 v9, v12, v9, vcc_lo
	s_cbranch_scc1 .LBB35_96
; %bb.97:
	v_add_nc_u32_e32 v10, 0x7f556516, v4
	s_movk_i32 s2, 0x2710
	v_lshrrev_b32_e32 v11, 19, v10
	v_xor3_b32 v10, v10, v11, 0xc761c23c
	v_lshl_add_u32 v10, v10, 5, v10
	v_add_nc_u32_e32 v11, 0xe9f8cc1d, v10
	v_lshl_add_u32 v10, v10, 9, 0xaccf6200
	v_xor_b32_e32 v10, v11, v10
	v_lshlrev_b32_e32 v11, 3, v10
	v_add3_u32 v10, v10, v11, 0xfd7046c5
	v_lshrrev_b32_e32 v11, 16, v10
	v_xor3_b32 v10, v10, v11, 0xb55a4f09
	v_mul_hi_u32 v11, v10, 3
	v_sub_nc_u32_e32 v12, v10, v11
	v_lshrrev_b32_e32 v12, 1, v12
	v_add_nc_u32_e32 v11, v12, v11
	v_lshrrev_b32_e32 v11, 30, v11
	v_mul_lo_u32 v11, 0x7fffffff, v11
	v_sub_nc_u32_e32 v10, v10, v11
	v_mov_b32_e32 v11, 0
	v_max_u32_e32 v10, 1, v10
.LBB35_98:                              ; =>This Inner Loop Header: Depth=1
	v_mul_hi_u32 v12, 0xbc8f1391, v10
	s_add_i32 s2, s2, -2
	s_cmp_lg_u32 s2, 0
	v_lshrrev_b32_e32 v12, 15, v12
	v_mul_u32_u24_e32 v13, 0xadc8, v12
	v_mul_u32_u24_e32 v12, 0xd47, v12
	v_sub_nc_u32_e32 v10, v10, v13
	v_xor_b32_e32 v13, 0x7fffffff, v12
	v_sub_nc_u32_e32 v14, 0, v12
	v_mul_lo_u32 v10, 0xbc8f, v10
	v_cmp_lt_u32_e32 vcc_lo, v10, v12
	v_cndmask_b32_e32 v12, v14, v13, vcc_lo
	v_add_nc_u32_e32 v10, v12, v10
	v_mul_hi_u32 v12, 0xbc8f1391, v10
	v_lshrrev_b32_e32 v12, 15, v12
	v_mul_u32_u24_e32 v13, 0xadc8, v12
	v_mul_u32_u24_e32 v12, 0xd47, v12
	v_sub_nc_u32_e32 v13, v10, v13
	v_xor_b32_e32 v14, 0x7fffffff, v12
	v_sub_nc_u32_e32 v15, 0, v12
	v_add_nc_u32_e32 v10, -1, v10
	v_mul_lo_u32 v13, 0xbc8f, v13
	v_cvt_f32_u32_e32 v10, v10
	v_cmp_lt_u32_e32 vcc_lo, v13, v12
	v_cndmask_b32_e32 v12, v15, v14, vcc_lo
	v_add_nc_u32_e32 v12, v12, v13
	v_mul_hi_u32 v13, 0xbc8f1391, v12
	v_lshrrev_b32_e32 v13, 15, v13
	v_mul_u32_u24_e32 v14, 0xadc8, v13
	v_mul_u32_u24_e32 v13, 0xd47, v13
	v_sub_nc_u32_e32 v14, v12, v14
	v_xor_b32_e32 v15, 0x7fffffff, v13
	v_sub_nc_u32_e32 v16, 0, v13
	v_add_nc_u32_e32 v12, -1, v12
	v_mul_lo_u32 v14, 0xbc8f, v14
	v_cvt_f32_u32_e32 v12, v12
	v_fma_f32 v12, 0x30000000, v12, 0
	v_cmp_lt_u32_e32 vcc_lo, v14, v13
	v_mul_f32_e32 v12, v12, v12
	v_cndmask_b32_e32 v13, v16, v15, vcc_lo
	v_fma_f32 v15, 0x30000000, v10, 0
	v_add_nc_u32_e32 v13, v13, v14
	v_fmac_f32_e32 v12, v15, v15
	v_mul_hi_u32 v14, 0xbc8f1391, v13
	v_mul_f32_e32 v15, 0x4f800000, v12
	v_lshrrev_b32_e32 v10, 15, v14
	v_mul_u32_u24_e32 v14, 0xadc8, v10
	v_mul_u32_u24_e32 v10, 0xd47, v10
	v_sub_nc_u32_e32 v14, v13, v14
	v_xor_b32_e32 v16, 0x7fffffff, v10
	v_sub_nc_u32_e32 v17, 0, v10
	v_add_nc_u32_e32 v13, -1, v13
	v_mul_lo_u32 v14, 0xbc8f, v14
	v_cvt_f32_u32_e32 v13, v13
	v_fma_f32 v13, 0x30000000, v13, 0
	v_cmp_lt_u32_e32 vcc_lo, v14, v10
	v_cndmask_b32_e32 v10, v17, v16, vcc_lo
	v_cmp_gt_f32_e32 vcc_lo, 0xf800000, v12
	v_add_f32_e32 v16, 1.0, v11
	v_add_nc_u32_e32 v10, v10, v14
	v_cndmask_b32_e32 v12, v12, v15, vcc_lo
	v_add_nc_u32_e32 v14, -1, v10
	v_cvt_f32_u32_e32 v14, v14
	v_fma_f32 v14, 0x30000000, v14, 0
	v_mul_f32_e32 v14, v14, v14
	v_fmac_f32_e32 v14, v13, v13
	v_sqrt_f32_e32 v13, v12
	v_mul_f32_e32 v15, 0x4f800000, v14
	v_cmp_gt_f32_e64 s0, 0xf800000, v14
	v_cndmask_b32_e64 v14, v14, v15, s0
	v_add_nc_u32_e32 v15, -1, v13
	v_add_nc_u32_e32 v17, 1, v13
	v_sqrt_f32_e32 v18, v14
	v_fma_f32 v19, -v15, v13, v12
	v_fma_f32 v20, -v17, v13, v12
	v_cmp_ge_f32_e64 s1, 0, v19
	v_cndmask_b32_e64 v13, v13, v15, s1
	v_cmp_lt_f32_e64 s1, 0, v20
	v_add_nc_u32_e32 v15, -1, v18
	v_cndmask_b32_e64 v13, v13, v17, s1
	v_add_nc_u32_e32 v17, 1, v18
	v_fma_f32 v19, -v15, v18, v14
	v_mul_f32_e32 v20, 0x37800000, v13
	v_fma_f32 v21, -v17, v18, v14
	v_cmp_ge_f32_e64 s1, 0, v19
	v_cndmask_b32_e32 v13, v13, v20, vcc_lo
	v_cmp_class_f32_e64 vcc_lo, v12, 0x260
	v_cndmask_b32_e64 v15, v18, v15, s1
	v_cmp_lt_f32_e64 s1, 0, v21
	v_cndmask_b32_e32 v12, v13, v12, vcc_lo
	v_cndmask_b32_e64 v15, v15, v17, s1
	v_cmp_nge_f32_e32 vcc_lo, 1.0, v12
	v_mul_f32_e32 v13, 0x37800000, v15
	v_cndmask_b32_e32 v11, v16, v11, vcc_lo
	v_cmp_class_f32_e64 vcc_lo, v14, 0x260
	v_cndmask_b32_e64 v12, v15, v13, s0
	v_add_f32_e32 v13, 1.0, v11
	v_cndmask_b32_e32 v12, v12, v14, vcc_lo
	v_cmp_nge_f32_e32 vcc_lo, 1.0, v12
	v_cndmask_b32_e32 v11, v13, v11, vcc_lo
	s_cbranch_scc1 .LBB35_98
; %bb.99:
	v_add_nc_u32_e32 v10, 0x7f656616, v4
	s_movk_i32 s2, 0x2710
	v_lshrrev_b32_e32 v12, 19, v10
	v_xor3_b32 v10, v10, v12, 0xc761c23c
	v_lshl_add_u32 v10, v10, 5, v10
	v_add_nc_u32_e32 v12, 0xe9f8cc1d, v10
	v_lshl_add_u32 v10, v10, 9, 0xaccf6200
	v_xor_b32_e32 v10, v12, v10
	v_lshlrev_b32_e32 v12, 3, v10
	v_add3_u32 v10, v10, v12, 0xfd7046c5
	v_lshrrev_b32_e32 v12, 16, v10
	v_xor3_b32 v10, v10, v12, 0xb55a4f09
	v_mul_hi_u32 v12, v10, 3
	v_sub_nc_u32_e32 v13, v10, v12
	v_lshrrev_b32_e32 v13, 1, v13
	v_add_nc_u32_e32 v12, v13, v12
	v_lshrrev_b32_e32 v12, 30, v12
	v_mul_lo_u32 v12, 0x7fffffff, v12
	v_sub_nc_u32_e32 v10, v10, v12
	v_max_u32_e32 v12, 1, v10
	v_mov_b32_e32 v10, 0
.LBB35_100:                             ; =>This Inner Loop Header: Depth=1
	v_mul_hi_u32 v13, 0xbc8f1391, v12
	s_add_i32 s2, s2, -2
	s_cmp_lg_u32 s2, 0
	v_lshrrev_b32_e32 v13, 15, v13
	v_mul_u32_u24_e32 v14, 0xadc8, v13
	v_mul_u32_u24_e32 v13, 0xd47, v13
	v_sub_nc_u32_e32 v12, v12, v14
	v_xor_b32_e32 v14, 0x7fffffff, v13
	v_sub_nc_u32_e32 v15, 0, v13
	v_mul_lo_u32 v12, 0xbc8f, v12
	v_cmp_lt_u32_e32 vcc_lo, v12, v13
	v_cndmask_b32_e32 v13, v15, v14, vcc_lo
	v_add_nc_u32_e32 v12, v13, v12
	v_mul_hi_u32 v13, 0xbc8f1391, v12
	v_lshrrev_b32_e32 v13, 15, v13
	v_mul_u32_u24_e32 v14, 0xadc8, v13
	v_mul_u32_u24_e32 v13, 0xd47, v13
	v_sub_nc_u32_e32 v14, v12, v14
	v_xor_b32_e32 v15, 0x7fffffff, v13
	v_sub_nc_u32_e32 v16, 0, v13
	v_add_nc_u32_e32 v12, -1, v12
	v_mul_lo_u32 v14, 0xbc8f, v14
	v_cvt_f32_u32_e32 v12, v12
	v_cmp_lt_u32_e32 vcc_lo, v14, v13
	v_cndmask_b32_e32 v13, v16, v15, vcc_lo
	v_add_nc_u32_e32 v13, v13, v14
	v_mul_hi_u32 v14, 0xbc8f1391, v13
	v_lshrrev_b32_e32 v14, 15, v14
	v_mul_u32_u24_e32 v15, 0xadc8, v14
	v_mul_u32_u24_e32 v14, 0xd47, v14
	v_sub_nc_u32_e32 v15, v13, v15
	v_xor_b32_e32 v16, 0x7fffffff, v14
	v_sub_nc_u32_e32 v17, 0, v14
	v_add_nc_u32_e32 v13, -1, v13
	v_mul_lo_u32 v15, 0xbc8f, v15
	v_cvt_f32_u32_e32 v13, v13
	v_fma_f32 v13, 0x30000000, v13, 0
	v_cmp_lt_u32_e32 vcc_lo, v15, v14
	v_mul_f32_e32 v13, v13, v13
	v_cndmask_b32_e32 v14, v17, v16, vcc_lo
	v_fma_f32 v16, 0x30000000, v12, 0
	v_add_nc_u32_e32 v14, v14, v15
	v_fmac_f32_e32 v13, v16, v16
	v_mul_hi_u32 v15, 0xbc8f1391, v14
	v_mul_f32_e32 v16, 0x4f800000, v13
	v_lshrrev_b32_e32 v12, 15, v15
	v_mul_u32_u24_e32 v15, 0xadc8, v12
	v_mul_u32_u24_e32 v12, 0xd47, v12
	v_sub_nc_u32_e32 v15, v14, v15
	v_xor_b32_e32 v17, 0x7fffffff, v12
	v_sub_nc_u32_e32 v18, 0, v12
	v_add_nc_u32_e32 v14, -1, v14
	v_mul_lo_u32 v15, 0xbc8f, v15
	v_cvt_f32_u32_e32 v14, v14
	v_fma_f32 v14, 0x30000000, v14, 0
	v_cmp_lt_u32_e32 vcc_lo, v15, v12
	v_cndmask_b32_e32 v12, v18, v17, vcc_lo
	v_cmp_gt_f32_e32 vcc_lo, 0xf800000, v13
	v_add_f32_e32 v17, 1.0, v10
	v_add_nc_u32_e32 v12, v12, v15
	v_cndmask_b32_e32 v13, v13, v16, vcc_lo
	v_add_nc_u32_e32 v15, -1, v12
	v_cvt_f32_u32_e32 v15, v15
	v_fma_f32 v15, 0x30000000, v15, 0
	v_mul_f32_e32 v15, v15, v15
	v_fmac_f32_e32 v15, v14, v14
	v_sqrt_f32_e32 v14, v13
	v_mul_f32_e32 v16, 0x4f800000, v15
	v_cmp_gt_f32_e64 s0, 0xf800000, v15
	v_cndmask_b32_e64 v15, v15, v16, s0
	v_add_nc_u32_e32 v16, -1, v14
	v_add_nc_u32_e32 v18, 1, v14
	v_sqrt_f32_e32 v19, v15
	v_fma_f32 v20, -v16, v14, v13
	v_fma_f32 v21, -v18, v14, v13
	v_cmp_ge_f32_e64 s1, 0, v20
	v_cndmask_b32_e64 v14, v14, v16, s1
	v_cmp_lt_f32_e64 s1, 0, v21
	v_add_nc_u32_e32 v16, -1, v19
	v_cndmask_b32_e64 v14, v14, v18, s1
	v_add_nc_u32_e32 v18, 1, v19
	v_fma_f32 v20, -v16, v19, v15
	v_mul_f32_e32 v21, 0x37800000, v14
	v_fma_f32 v22, -v18, v19, v15
	v_cmp_ge_f32_e64 s1, 0, v20
	v_cndmask_b32_e32 v14, v14, v21, vcc_lo
	v_cmp_class_f32_e64 vcc_lo, v13, 0x260
	v_cndmask_b32_e64 v16, v19, v16, s1
	v_cmp_lt_f32_e64 s1, 0, v22
	v_cndmask_b32_e32 v13, v14, v13, vcc_lo
	v_cndmask_b32_e64 v16, v16, v18, s1
	v_cmp_nge_f32_e32 vcc_lo, 1.0, v13
	v_mul_f32_e32 v14, 0x37800000, v16
	v_cndmask_b32_e32 v10, v17, v10, vcc_lo
	v_cmp_class_f32_e64 vcc_lo, v15, 0x260
	v_cndmask_b32_e64 v13, v16, v14, s0
	v_add_f32_e32 v14, 1.0, v10
	v_cndmask_b32_e32 v13, v13, v15, vcc_lo
	v_cmp_nge_f32_e32 vcc_lo, 1.0, v13
	v_cndmask_b32_e32 v10, v14, v10, vcc_lo
	s_cbranch_scc1 .LBB35_100
; %bb.101:
	v_add_nc_u32_e32 v12, 0x7f756716, v4
	s_movk_i32 s2, 0x2710
	v_lshrrev_b32_e32 v13, 19, v12
	v_xor3_b32 v12, v12, v13, 0xc761c23c
	v_lshl_add_u32 v12, v12, 5, v12
	v_add_nc_u32_e32 v13, 0xe9f8cc1d, v12
	v_lshl_add_u32 v12, v12, 9, 0xaccf6200
	v_xor_b32_e32 v12, v13, v12
	v_lshlrev_b32_e32 v13, 3, v12
	v_add3_u32 v12, v12, v13, 0xfd7046c5
	v_lshrrev_b32_e32 v13, 16, v12
	v_xor3_b32 v12, v12, v13, 0xb55a4f09
	v_mul_hi_u32 v13, v12, 3
	v_sub_nc_u32_e32 v14, v12, v13
	v_lshrrev_b32_e32 v14, 1, v14
	v_add_nc_u32_e32 v13, v14, v13
	v_lshrrev_b32_e32 v13, 30, v13
	v_mul_lo_u32 v13, 0x7fffffff, v13
	v_sub_nc_u32_e32 v12, v12, v13
	v_max_u32_e32 v13, 1, v12
	v_mov_b32_e32 v12, 0
.LBB35_102:                             ; =>This Inner Loop Header: Depth=1
	v_mul_hi_u32 v14, 0xbc8f1391, v13
	s_add_i32 s2, s2, -2
	s_cmp_lg_u32 s2, 0
	v_lshrrev_b32_e32 v14, 15, v14
	v_mul_u32_u24_e32 v15, 0xadc8, v14
	v_mul_u32_u24_e32 v14, 0xd47, v14
	v_sub_nc_u32_e32 v13, v13, v15
	v_xor_b32_e32 v15, 0x7fffffff, v14
	v_sub_nc_u32_e32 v16, 0, v14
	v_mul_lo_u32 v13, 0xbc8f, v13
	v_cmp_lt_u32_e32 vcc_lo, v13, v14
	v_cndmask_b32_e32 v14, v16, v15, vcc_lo
	v_add_nc_u32_e32 v13, v14, v13
	v_mul_hi_u32 v14, 0xbc8f1391, v13
	v_lshrrev_b32_e32 v14, 15, v14
	v_mul_u32_u24_e32 v15, 0xadc8, v14
	v_mul_u32_u24_e32 v14, 0xd47, v14
	v_sub_nc_u32_e32 v15, v13, v15
	v_xor_b32_e32 v16, 0x7fffffff, v14
	v_sub_nc_u32_e32 v17, 0, v14
	v_add_nc_u32_e32 v13, -1, v13
	v_mul_lo_u32 v15, 0xbc8f, v15
	v_cvt_f32_u32_e32 v13, v13
	v_cmp_lt_u32_e32 vcc_lo, v15, v14
	v_cndmask_b32_e32 v14, v17, v16, vcc_lo
	v_add_nc_u32_e32 v14, v14, v15
	v_mul_hi_u32 v15, 0xbc8f1391, v14
	v_lshrrev_b32_e32 v15, 15, v15
	v_mul_u32_u24_e32 v16, 0xadc8, v15
	v_mul_u32_u24_e32 v15, 0xd47, v15
	v_sub_nc_u32_e32 v16, v14, v16
	v_xor_b32_e32 v17, 0x7fffffff, v15
	v_sub_nc_u32_e32 v18, 0, v15
	v_add_nc_u32_e32 v14, -1, v14
	v_mul_lo_u32 v16, 0xbc8f, v16
	v_cvt_f32_u32_e32 v14, v14
	v_fma_f32 v14, 0x30000000, v14, 0
	v_cmp_lt_u32_e32 vcc_lo, v16, v15
	v_mul_f32_e32 v14, v14, v14
	v_cndmask_b32_e32 v15, v18, v17, vcc_lo
	v_fma_f32 v17, 0x30000000, v13, 0
	v_add_nc_u32_e32 v15, v15, v16
	v_fmac_f32_e32 v14, v17, v17
	v_mul_hi_u32 v16, 0xbc8f1391, v15
	v_mul_f32_e32 v17, 0x4f800000, v14
	v_lshrrev_b32_e32 v13, 15, v16
	v_mul_u32_u24_e32 v16, 0xadc8, v13
	v_mul_u32_u24_e32 v13, 0xd47, v13
	v_sub_nc_u32_e32 v16, v15, v16
	v_xor_b32_e32 v18, 0x7fffffff, v13
	v_sub_nc_u32_e32 v19, 0, v13
	v_add_nc_u32_e32 v15, -1, v15
	v_mul_lo_u32 v16, 0xbc8f, v16
	v_cvt_f32_u32_e32 v15, v15
	v_fma_f32 v15, 0x30000000, v15, 0
	v_cmp_lt_u32_e32 vcc_lo, v16, v13
	v_cndmask_b32_e32 v13, v19, v18, vcc_lo
	v_cmp_gt_f32_e32 vcc_lo, 0xf800000, v14
	v_add_f32_e32 v18, 1.0, v12
	v_add_nc_u32_e32 v13, v13, v16
	v_cndmask_b32_e32 v14, v14, v17, vcc_lo
	v_add_nc_u32_e32 v16, -1, v13
	v_cvt_f32_u32_e32 v16, v16
	v_fma_f32 v16, 0x30000000, v16, 0
	v_mul_f32_e32 v16, v16, v16
	v_fmac_f32_e32 v16, v15, v15
	v_sqrt_f32_e32 v15, v14
	v_mul_f32_e32 v17, 0x4f800000, v16
	v_cmp_gt_f32_e64 s0, 0xf800000, v16
	v_cndmask_b32_e64 v16, v16, v17, s0
	v_add_nc_u32_e32 v17, -1, v15
	v_add_nc_u32_e32 v19, 1, v15
	v_sqrt_f32_e32 v20, v16
	v_fma_f32 v21, -v17, v15, v14
	v_fma_f32 v22, -v19, v15, v14
	v_cmp_ge_f32_e64 s1, 0, v21
	v_cndmask_b32_e64 v15, v15, v17, s1
	v_cmp_lt_f32_e64 s1, 0, v22
	v_add_nc_u32_e32 v17, -1, v20
	v_cndmask_b32_e64 v15, v15, v19, s1
	v_add_nc_u32_e32 v19, 1, v20
	v_fma_f32 v21, -v17, v20, v16
	v_mul_f32_e32 v22, 0x37800000, v15
	v_fma_f32 v23, -v19, v20, v16
	v_cmp_ge_f32_e64 s1, 0, v21
	v_cndmask_b32_e32 v15, v15, v22, vcc_lo
	v_cmp_class_f32_e64 vcc_lo, v14, 0x260
	v_cndmask_b32_e64 v17, v20, v17, s1
	v_cmp_lt_f32_e64 s1, 0, v23
	v_cndmask_b32_e32 v14, v15, v14, vcc_lo
	v_cndmask_b32_e64 v17, v17, v19, s1
	v_cmp_nge_f32_e32 vcc_lo, 1.0, v14
	v_mul_f32_e32 v15, 0x37800000, v17
	v_cndmask_b32_e32 v12, v18, v12, vcc_lo
	v_cmp_class_f32_e64 vcc_lo, v16, 0x260
	v_cndmask_b32_e64 v14, v17, v15, s0
	v_add_f32_e32 v15, 1.0, v12
	v_cndmask_b32_e32 v14, v14, v16, vcc_lo
	v_cmp_nge_f32_e32 vcc_lo, 1.0, v14
	v_cndmask_b32_e32 v12, v15, v12, vcc_lo
	s_cbranch_scc1 .LBB35_102
; %bb.103:
	v_add_nc_u32_e32 v13, 0x7f856816, v4
	s_movk_i32 s2, 0x2710
	v_lshrrev_b32_e32 v14, 19, v13
	v_xor3_b32 v13, v13, v14, 0xc761c23c
	v_lshl_add_u32 v13, v13, 5, v13
	v_add_nc_u32_e32 v14, 0xe9f8cc1d, v13
	v_lshl_add_u32 v13, v13, 9, 0xaccf6200
	v_xor_b32_e32 v13, v14, v13
	v_lshlrev_b32_e32 v14, 3, v13
	v_add3_u32 v13, v13, v14, 0xfd7046c5
	v_lshrrev_b32_e32 v14, 16, v13
	v_xor3_b32 v13, v13, v14, 0xb55a4f09
	v_mul_hi_u32 v14, v13, 3
	v_sub_nc_u32_e32 v15, v13, v14
	v_lshrrev_b32_e32 v15, 1, v15
	v_add_nc_u32_e32 v14, v15, v14
	v_lshrrev_b32_e32 v14, 30, v14
	v_mul_lo_u32 v14, 0x7fffffff, v14
	v_sub_nc_u32_e32 v13, v13, v14
	v_max_u32_e32 v14, 1, v13
	v_mov_b32_e32 v13, 0
.LBB35_104:                             ; =>This Inner Loop Header: Depth=1
	v_mul_hi_u32 v15, 0xbc8f1391, v14
	s_add_i32 s2, s2, -2
	s_cmp_lg_u32 s2, 0
	v_lshrrev_b32_e32 v15, 15, v15
	v_mul_u32_u24_e32 v16, 0xadc8, v15
	v_mul_u32_u24_e32 v15, 0xd47, v15
	v_sub_nc_u32_e32 v14, v14, v16
	v_xor_b32_e32 v16, 0x7fffffff, v15
	v_sub_nc_u32_e32 v17, 0, v15
	v_mul_lo_u32 v14, 0xbc8f, v14
	v_cmp_lt_u32_e32 vcc_lo, v14, v15
	v_cndmask_b32_e32 v15, v17, v16, vcc_lo
	v_add_nc_u32_e32 v14, v15, v14
	v_mul_hi_u32 v15, 0xbc8f1391, v14
	v_lshrrev_b32_e32 v15, 15, v15
	v_mul_u32_u24_e32 v16, 0xadc8, v15
	v_mul_u32_u24_e32 v15, 0xd47, v15
	v_sub_nc_u32_e32 v16, v14, v16
	v_xor_b32_e32 v17, 0x7fffffff, v15
	v_sub_nc_u32_e32 v18, 0, v15
	v_add_nc_u32_e32 v14, -1, v14
	v_mul_lo_u32 v16, 0xbc8f, v16
	v_cvt_f32_u32_e32 v14, v14
	v_cmp_lt_u32_e32 vcc_lo, v16, v15
	v_cndmask_b32_e32 v15, v18, v17, vcc_lo
	v_add_nc_u32_e32 v15, v15, v16
	v_mul_hi_u32 v16, 0xbc8f1391, v15
	v_lshrrev_b32_e32 v16, 15, v16
	v_mul_u32_u24_e32 v17, 0xadc8, v16
	v_mul_u32_u24_e32 v16, 0xd47, v16
	v_sub_nc_u32_e32 v17, v15, v17
	v_xor_b32_e32 v18, 0x7fffffff, v16
	v_sub_nc_u32_e32 v19, 0, v16
	v_add_nc_u32_e32 v15, -1, v15
	v_mul_lo_u32 v17, 0xbc8f, v17
	v_cvt_f32_u32_e32 v15, v15
	v_fma_f32 v15, 0x30000000, v15, 0
	v_cmp_lt_u32_e32 vcc_lo, v17, v16
	v_mul_f32_e32 v15, v15, v15
	v_cndmask_b32_e32 v16, v19, v18, vcc_lo
	v_fma_f32 v18, 0x30000000, v14, 0
	v_add_nc_u32_e32 v16, v16, v17
	v_fmac_f32_e32 v15, v18, v18
	v_mul_hi_u32 v17, 0xbc8f1391, v16
	v_mul_f32_e32 v18, 0x4f800000, v15
	v_lshrrev_b32_e32 v14, 15, v17
	v_mul_u32_u24_e32 v17, 0xadc8, v14
	v_mul_u32_u24_e32 v14, 0xd47, v14
	v_sub_nc_u32_e32 v17, v16, v17
	v_xor_b32_e32 v19, 0x7fffffff, v14
	v_sub_nc_u32_e32 v20, 0, v14
	v_add_nc_u32_e32 v16, -1, v16
	v_mul_lo_u32 v17, 0xbc8f, v17
	v_cvt_f32_u32_e32 v16, v16
	v_fma_f32 v16, 0x30000000, v16, 0
	v_cmp_lt_u32_e32 vcc_lo, v17, v14
	v_cndmask_b32_e32 v14, v20, v19, vcc_lo
	v_cmp_gt_f32_e32 vcc_lo, 0xf800000, v15
	v_add_f32_e32 v19, 1.0, v13
	v_add_nc_u32_e32 v14, v14, v17
	v_cndmask_b32_e32 v15, v15, v18, vcc_lo
	v_add_nc_u32_e32 v17, -1, v14
	v_cvt_f32_u32_e32 v17, v17
	v_fma_f32 v17, 0x30000000, v17, 0
	v_mul_f32_e32 v17, v17, v17
	v_fmac_f32_e32 v17, v16, v16
	v_sqrt_f32_e32 v16, v15
	v_mul_f32_e32 v18, 0x4f800000, v17
	v_cmp_gt_f32_e64 s0, 0xf800000, v17
	v_cndmask_b32_e64 v17, v17, v18, s0
	v_add_nc_u32_e32 v18, -1, v16
	v_add_nc_u32_e32 v20, 1, v16
	v_sqrt_f32_e32 v21, v17
	v_fma_f32 v22, -v18, v16, v15
	v_fma_f32 v23, -v20, v16, v15
	v_cmp_ge_f32_e64 s1, 0, v22
	v_cndmask_b32_e64 v16, v16, v18, s1
	v_cmp_lt_f32_e64 s1, 0, v23
	v_add_nc_u32_e32 v18, -1, v21
	v_cndmask_b32_e64 v16, v16, v20, s1
	v_add_nc_u32_e32 v20, 1, v21
	v_fma_f32 v22, -v18, v21, v17
	v_mul_f32_e32 v23, 0x37800000, v16
	v_fma_f32 v24, -v20, v21, v17
	v_cmp_ge_f32_e64 s1, 0, v22
	v_cndmask_b32_e32 v16, v16, v23, vcc_lo
	v_cmp_class_f32_e64 vcc_lo, v15, 0x260
	v_cndmask_b32_e64 v18, v21, v18, s1
	v_cmp_lt_f32_e64 s1, 0, v24
	v_cndmask_b32_e32 v15, v16, v15, vcc_lo
	v_cndmask_b32_e64 v18, v18, v20, s1
	v_cmp_nge_f32_e32 vcc_lo, 1.0, v15
	v_mul_f32_e32 v16, 0x37800000, v18
	v_cndmask_b32_e32 v13, v19, v13, vcc_lo
	v_cmp_class_f32_e64 vcc_lo, v17, 0x260
	v_cndmask_b32_e64 v15, v18, v16, s0
	v_add_f32_e32 v16, 1.0, v13
	v_cndmask_b32_e32 v15, v15, v17, vcc_lo
	v_cmp_nge_f32_e32 vcc_lo, 1.0, v15
	v_cndmask_b32_e32 v13, v16, v13, vcc_lo
	s_cbranch_scc1 .LBB35_104
; %bb.105:
	v_add_nc_u32_e32 v14, 0x7f956916, v4
	s_movk_i32 s2, 0x2710
	v_lshrrev_b32_e32 v15, 19, v14
	v_xor3_b32 v14, v14, v15, 0xc761c23c
	v_lshl_add_u32 v14, v14, 5, v14
	v_add_nc_u32_e32 v15, 0xe9f8cc1d, v14
	v_lshl_add_u32 v14, v14, 9, 0xaccf6200
	v_xor_b32_e32 v14, v15, v14
	v_lshlrev_b32_e32 v15, 3, v14
	v_add3_u32 v14, v14, v15, 0xfd7046c5
	v_lshrrev_b32_e32 v15, 16, v14
	v_xor3_b32 v14, v14, v15, 0xb55a4f09
	v_mul_hi_u32 v15, v14, 3
	v_sub_nc_u32_e32 v16, v14, v15
	v_lshrrev_b32_e32 v16, 1, v16
	v_add_nc_u32_e32 v15, v16, v15
	v_lshrrev_b32_e32 v15, 30, v15
	v_mul_lo_u32 v15, 0x7fffffff, v15
	v_sub_nc_u32_e32 v14, v14, v15
	v_max_u32_e32 v15, 1, v14
	v_mov_b32_e32 v14, 0
.LBB35_106:                             ; =>This Inner Loop Header: Depth=1
	v_mul_hi_u32 v16, 0xbc8f1391, v15
	s_add_i32 s2, s2, -2
	s_cmp_lg_u32 s2, 0
	v_lshrrev_b32_e32 v16, 15, v16
	v_mul_u32_u24_e32 v17, 0xadc8, v16
	v_mul_u32_u24_e32 v16, 0xd47, v16
	v_sub_nc_u32_e32 v15, v15, v17
	v_xor_b32_e32 v17, 0x7fffffff, v16
	v_sub_nc_u32_e32 v18, 0, v16
	v_mul_lo_u32 v15, 0xbc8f, v15
	v_cmp_lt_u32_e32 vcc_lo, v15, v16
	v_cndmask_b32_e32 v16, v18, v17, vcc_lo
	v_add_nc_u32_e32 v15, v16, v15
	v_mul_hi_u32 v16, 0xbc8f1391, v15
	v_lshrrev_b32_e32 v16, 15, v16
	v_mul_u32_u24_e32 v17, 0xadc8, v16
	v_mul_u32_u24_e32 v16, 0xd47, v16
	v_sub_nc_u32_e32 v17, v15, v17
	v_xor_b32_e32 v18, 0x7fffffff, v16
	v_sub_nc_u32_e32 v19, 0, v16
	v_add_nc_u32_e32 v15, -1, v15
	v_mul_lo_u32 v17, 0xbc8f, v17
	v_cvt_f32_u32_e32 v15, v15
	v_cmp_lt_u32_e32 vcc_lo, v17, v16
	v_cndmask_b32_e32 v16, v19, v18, vcc_lo
	v_add_nc_u32_e32 v16, v16, v17
	v_mul_hi_u32 v17, 0xbc8f1391, v16
	v_lshrrev_b32_e32 v17, 15, v17
	v_mul_u32_u24_e32 v18, 0xadc8, v17
	v_mul_u32_u24_e32 v17, 0xd47, v17
	v_sub_nc_u32_e32 v18, v16, v18
	v_xor_b32_e32 v19, 0x7fffffff, v17
	v_sub_nc_u32_e32 v20, 0, v17
	v_add_nc_u32_e32 v16, -1, v16
	v_mul_lo_u32 v18, 0xbc8f, v18
	v_cvt_f32_u32_e32 v16, v16
	v_fma_f32 v16, 0x30000000, v16, 0
	v_cmp_lt_u32_e32 vcc_lo, v18, v17
	v_mul_f32_e32 v16, v16, v16
	v_cndmask_b32_e32 v17, v20, v19, vcc_lo
	v_fma_f32 v19, 0x30000000, v15, 0
	v_add_nc_u32_e32 v17, v17, v18
	v_fmac_f32_e32 v16, v19, v19
	v_mul_hi_u32 v18, 0xbc8f1391, v17
	v_mul_f32_e32 v19, 0x4f800000, v16
	v_lshrrev_b32_e32 v15, 15, v18
	v_mul_u32_u24_e32 v18, 0xadc8, v15
	v_mul_u32_u24_e32 v15, 0xd47, v15
	v_sub_nc_u32_e32 v18, v17, v18
	v_xor_b32_e32 v20, 0x7fffffff, v15
	v_sub_nc_u32_e32 v21, 0, v15
	v_add_nc_u32_e32 v17, -1, v17
	v_mul_lo_u32 v18, 0xbc8f, v18
	v_cvt_f32_u32_e32 v17, v17
	v_fma_f32 v17, 0x30000000, v17, 0
	v_cmp_lt_u32_e32 vcc_lo, v18, v15
	v_cndmask_b32_e32 v15, v21, v20, vcc_lo
	v_cmp_gt_f32_e32 vcc_lo, 0xf800000, v16
	v_add_f32_e32 v20, 1.0, v14
	v_add_nc_u32_e32 v15, v15, v18
	v_cndmask_b32_e32 v16, v16, v19, vcc_lo
	v_add_nc_u32_e32 v18, -1, v15
	v_cvt_f32_u32_e32 v18, v18
	v_fma_f32 v18, 0x30000000, v18, 0
	v_mul_f32_e32 v18, v18, v18
	v_fmac_f32_e32 v18, v17, v17
	v_sqrt_f32_e32 v17, v16
	v_mul_f32_e32 v19, 0x4f800000, v18
	v_cmp_gt_f32_e64 s0, 0xf800000, v18
	v_cndmask_b32_e64 v18, v18, v19, s0
	v_add_nc_u32_e32 v19, -1, v17
	v_add_nc_u32_e32 v21, 1, v17
	v_sqrt_f32_e32 v22, v18
	v_fma_f32 v23, -v19, v17, v16
	v_fma_f32 v24, -v21, v17, v16
	v_cmp_ge_f32_e64 s1, 0, v23
	v_cndmask_b32_e64 v17, v17, v19, s1
	v_cmp_lt_f32_e64 s1, 0, v24
	v_add_nc_u32_e32 v19, -1, v22
	v_cndmask_b32_e64 v17, v17, v21, s1
	v_add_nc_u32_e32 v21, 1, v22
	v_fma_f32 v23, -v19, v22, v18
	v_mul_f32_e32 v24, 0x37800000, v17
	v_fma_f32 v25, -v21, v22, v18
	v_cmp_ge_f32_e64 s1, 0, v23
	v_cndmask_b32_e32 v17, v17, v24, vcc_lo
	v_cmp_class_f32_e64 vcc_lo, v16, 0x260
	v_cndmask_b32_e64 v19, v22, v19, s1
	v_cmp_lt_f32_e64 s1, 0, v25
	v_cndmask_b32_e32 v16, v17, v16, vcc_lo
	v_cndmask_b32_e64 v19, v19, v21, s1
	v_cmp_nge_f32_e32 vcc_lo, 1.0, v16
	v_mul_f32_e32 v17, 0x37800000, v19
	v_cndmask_b32_e32 v14, v20, v14, vcc_lo
	v_cmp_class_f32_e64 vcc_lo, v18, 0x260
	v_cndmask_b32_e64 v16, v19, v17, s0
	v_add_f32_e32 v17, 1.0, v14
	v_cndmask_b32_e32 v16, v16, v18, vcc_lo
	v_cmp_nge_f32_e32 vcc_lo, 1.0, v16
	v_cndmask_b32_e32 v14, v17, v14, vcc_lo
	s_cbranch_scc1 .LBB35_106
; %bb.107:
	v_add_nc_u32_e32 v15, 0x7fa56a16, v4
	s_movk_i32 s2, 0x2710
	v_lshrrev_b32_e32 v16, 19, v15
	v_xor3_b32 v15, v15, v16, 0xc761c23c
	v_lshl_add_u32 v15, v15, 5, v15
	v_add_nc_u32_e32 v16, 0xe9f8cc1d, v15
	v_lshl_add_u32 v15, v15, 9, 0xaccf6200
	v_xor_b32_e32 v15, v16, v15
	v_lshlrev_b32_e32 v16, 3, v15
	v_add3_u32 v15, v15, v16, 0xfd7046c5
	v_lshrrev_b32_e32 v16, 16, v15
	v_xor3_b32 v15, v15, v16, 0xb55a4f09
	v_mul_hi_u32 v16, v15, 3
	v_sub_nc_u32_e32 v17, v15, v16
	v_lshrrev_b32_e32 v17, 1, v17
	v_add_nc_u32_e32 v16, v17, v16
	v_lshrrev_b32_e32 v16, 30, v16
	v_mul_lo_u32 v16, 0x7fffffff, v16
	v_sub_nc_u32_e32 v15, v15, v16
	v_max_u32_e32 v16, 1, v15
	v_mov_b32_e32 v15, 0
.LBB35_108:                             ; =>This Inner Loop Header: Depth=1
	v_mul_hi_u32 v17, 0xbc8f1391, v16
	s_add_i32 s2, s2, -2
	s_cmp_lg_u32 s2, 0
	v_lshrrev_b32_e32 v17, 15, v17
	v_mul_u32_u24_e32 v18, 0xadc8, v17
	v_mul_u32_u24_e32 v17, 0xd47, v17
	v_sub_nc_u32_e32 v16, v16, v18
	v_xor_b32_e32 v18, 0x7fffffff, v17
	v_sub_nc_u32_e32 v19, 0, v17
	v_mul_lo_u32 v16, 0xbc8f, v16
	v_cmp_lt_u32_e32 vcc_lo, v16, v17
	v_cndmask_b32_e32 v17, v19, v18, vcc_lo
	v_add_nc_u32_e32 v16, v17, v16
	v_mul_hi_u32 v17, 0xbc8f1391, v16
	v_lshrrev_b32_e32 v17, 15, v17
	v_mul_u32_u24_e32 v18, 0xadc8, v17
	v_mul_u32_u24_e32 v17, 0xd47, v17
	v_sub_nc_u32_e32 v18, v16, v18
	v_xor_b32_e32 v19, 0x7fffffff, v17
	v_sub_nc_u32_e32 v20, 0, v17
	v_add_nc_u32_e32 v16, -1, v16
	v_mul_lo_u32 v18, 0xbc8f, v18
	v_cvt_f32_u32_e32 v16, v16
	v_cmp_lt_u32_e32 vcc_lo, v18, v17
	v_cndmask_b32_e32 v17, v20, v19, vcc_lo
	v_add_nc_u32_e32 v17, v17, v18
	v_mul_hi_u32 v18, 0xbc8f1391, v17
	v_lshrrev_b32_e32 v18, 15, v18
	v_mul_u32_u24_e32 v19, 0xadc8, v18
	v_mul_u32_u24_e32 v18, 0xd47, v18
	v_sub_nc_u32_e32 v19, v17, v19
	v_xor_b32_e32 v20, 0x7fffffff, v18
	v_sub_nc_u32_e32 v21, 0, v18
	v_add_nc_u32_e32 v17, -1, v17
	v_mul_lo_u32 v19, 0xbc8f, v19
	v_cvt_f32_u32_e32 v17, v17
	v_fma_f32 v17, 0x30000000, v17, 0
	v_cmp_lt_u32_e32 vcc_lo, v19, v18
	v_mul_f32_e32 v17, v17, v17
	v_cndmask_b32_e32 v18, v21, v20, vcc_lo
	v_fma_f32 v20, 0x30000000, v16, 0
	v_add_nc_u32_e32 v18, v18, v19
	v_fmac_f32_e32 v17, v20, v20
	v_mul_hi_u32 v19, 0xbc8f1391, v18
	v_mul_f32_e32 v20, 0x4f800000, v17
	v_lshrrev_b32_e32 v16, 15, v19
	v_mul_u32_u24_e32 v19, 0xadc8, v16
	v_mul_u32_u24_e32 v16, 0xd47, v16
	v_sub_nc_u32_e32 v19, v18, v19
	v_xor_b32_e32 v21, 0x7fffffff, v16
	v_sub_nc_u32_e32 v22, 0, v16
	v_add_nc_u32_e32 v18, -1, v18
	v_mul_lo_u32 v19, 0xbc8f, v19
	v_cvt_f32_u32_e32 v18, v18
	v_fma_f32 v18, 0x30000000, v18, 0
	v_cmp_lt_u32_e32 vcc_lo, v19, v16
	v_cndmask_b32_e32 v16, v22, v21, vcc_lo
	v_cmp_gt_f32_e32 vcc_lo, 0xf800000, v17
	v_add_f32_e32 v21, 1.0, v15
	v_add_nc_u32_e32 v16, v16, v19
	v_cndmask_b32_e32 v17, v17, v20, vcc_lo
	v_add_nc_u32_e32 v19, -1, v16
	v_cvt_f32_u32_e32 v19, v19
	v_fma_f32 v19, 0x30000000, v19, 0
	v_mul_f32_e32 v19, v19, v19
	v_fmac_f32_e32 v19, v18, v18
	v_sqrt_f32_e32 v18, v17
	v_mul_f32_e32 v20, 0x4f800000, v19
	v_cmp_gt_f32_e64 s0, 0xf800000, v19
	v_cndmask_b32_e64 v19, v19, v20, s0
	v_add_nc_u32_e32 v20, -1, v18
	v_add_nc_u32_e32 v22, 1, v18
	v_sqrt_f32_e32 v23, v19
	v_fma_f32 v24, -v20, v18, v17
	v_fma_f32 v25, -v22, v18, v17
	v_cmp_ge_f32_e64 s1, 0, v24
	v_cndmask_b32_e64 v18, v18, v20, s1
	v_cmp_lt_f32_e64 s1, 0, v25
	v_add_nc_u32_e32 v20, -1, v23
	v_cndmask_b32_e64 v18, v18, v22, s1
	v_add_nc_u32_e32 v22, 1, v23
	v_fma_f32 v24, -v20, v23, v19
	v_mul_f32_e32 v25, 0x37800000, v18
	v_fma_f32 v26, -v22, v23, v19
	v_cmp_ge_f32_e64 s1, 0, v24
	v_cndmask_b32_e32 v18, v18, v25, vcc_lo
	v_cmp_class_f32_e64 vcc_lo, v17, 0x260
	v_cndmask_b32_e64 v20, v23, v20, s1
	v_cmp_lt_f32_e64 s1, 0, v26
	v_cndmask_b32_e32 v17, v18, v17, vcc_lo
	v_cndmask_b32_e64 v20, v20, v22, s1
	v_cmp_nge_f32_e32 vcc_lo, 1.0, v17
	v_mul_f32_e32 v18, 0x37800000, v20
	v_cndmask_b32_e32 v15, v21, v15, vcc_lo
	v_cmp_class_f32_e64 vcc_lo, v19, 0x260
	v_cndmask_b32_e64 v17, v20, v18, s0
	v_add_f32_e32 v18, 1.0, v15
	v_cndmask_b32_e32 v17, v17, v19, vcc_lo
	v_cmp_nge_f32_e32 vcc_lo, 1.0, v17
	v_cndmask_b32_e32 v15, v18, v15, vcc_lo
	s_cbranch_scc1 .LBB35_108
; %bb.109:
	v_add_nc_u32_e32 v16, 0x7fb56b16, v4
	s_movk_i32 s2, 0x2710
	v_lshrrev_b32_e32 v17, 19, v16
	v_xor3_b32 v16, v16, v17, 0xc761c23c
	v_lshl_add_u32 v16, v16, 5, v16
	v_add_nc_u32_e32 v17, 0xe9f8cc1d, v16
	v_lshl_add_u32 v16, v16, 9, 0xaccf6200
	v_xor_b32_e32 v16, v17, v16
	v_lshlrev_b32_e32 v17, 3, v16
	v_add3_u32 v16, v16, v17, 0xfd7046c5
	v_lshrrev_b32_e32 v17, 16, v16
	v_xor3_b32 v16, v16, v17, 0xb55a4f09
	v_mul_hi_u32 v17, v16, 3
	v_sub_nc_u32_e32 v18, v16, v17
	v_lshrrev_b32_e32 v18, 1, v18
	v_add_nc_u32_e32 v17, v18, v17
	v_lshrrev_b32_e32 v17, 30, v17
	v_mul_lo_u32 v17, 0x7fffffff, v17
	v_sub_nc_u32_e32 v16, v16, v17
	v_max_u32_e32 v17, 1, v16
	v_mov_b32_e32 v16, 0
.LBB35_110:                             ; =>This Inner Loop Header: Depth=1
	v_mul_hi_u32 v18, 0xbc8f1391, v17
	s_add_i32 s2, s2, -2
	s_cmp_lg_u32 s2, 0
	v_lshrrev_b32_e32 v18, 15, v18
	v_mul_u32_u24_e32 v19, 0xadc8, v18
	v_mul_u32_u24_e32 v18, 0xd47, v18
	v_sub_nc_u32_e32 v17, v17, v19
	v_xor_b32_e32 v19, 0x7fffffff, v18
	v_sub_nc_u32_e32 v20, 0, v18
	v_mul_lo_u32 v17, 0xbc8f, v17
	v_cmp_lt_u32_e32 vcc_lo, v17, v18
	v_cndmask_b32_e32 v18, v20, v19, vcc_lo
	v_add_nc_u32_e32 v17, v18, v17
	v_mul_hi_u32 v18, 0xbc8f1391, v17
	v_lshrrev_b32_e32 v18, 15, v18
	v_mul_u32_u24_e32 v19, 0xadc8, v18
	v_mul_u32_u24_e32 v18, 0xd47, v18
	v_sub_nc_u32_e32 v19, v17, v19
	v_xor_b32_e32 v20, 0x7fffffff, v18
	v_sub_nc_u32_e32 v21, 0, v18
	v_add_nc_u32_e32 v17, -1, v17
	v_mul_lo_u32 v19, 0xbc8f, v19
	v_cvt_f32_u32_e32 v17, v17
	v_cmp_lt_u32_e32 vcc_lo, v19, v18
	v_cndmask_b32_e32 v18, v21, v20, vcc_lo
	v_add_nc_u32_e32 v18, v18, v19
	v_mul_hi_u32 v19, 0xbc8f1391, v18
	v_lshrrev_b32_e32 v19, 15, v19
	v_mul_u32_u24_e32 v20, 0xadc8, v19
	v_mul_u32_u24_e32 v19, 0xd47, v19
	v_sub_nc_u32_e32 v20, v18, v20
	v_xor_b32_e32 v21, 0x7fffffff, v19
	v_sub_nc_u32_e32 v22, 0, v19
	v_add_nc_u32_e32 v18, -1, v18
	v_mul_lo_u32 v20, 0xbc8f, v20
	v_cvt_f32_u32_e32 v18, v18
	v_fma_f32 v18, 0x30000000, v18, 0
	v_cmp_lt_u32_e32 vcc_lo, v20, v19
	v_mul_f32_e32 v18, v18, v18
	v_cndmask_b32_e32 v19, v22, v21, vcc_lo
	v_fma_f32 v21, 0x30000000, v17, 0
	v_add_nc_u32_e32 v19, v19, v20
	v_fmac_f32_e32 v18, v21, v21
	v_mul_hi_u32 v20, 0xbc8f1391, v19
	v_mul_f32_e32 v21, 0x4f800000, v18
	v_lshrrev_b32_e32 v17, 15, v20
	v_mul_u32_u24_e32 v20, 0xadc8, v17
	v_mul_u32_u24_e32 v17, 0xd47, v17
	v_sub_nc_u32_e32 v20, v19, v20
	v_xor_b32_e32 v22, 0x7fffffff, v17
	v_sub_nc_u32_e32 v23, 0, v17
	v_add_nc_u32_e32 v19, -1, v19
	v_mul_lo_u32 v20, 0xbc8f, v20
	v_cvt_f32_u32_e32 v19, v19
	v_fma_f32 v19, 0x30000000, v19, 0
	v_cmp_lt_u32_e32 vcc_lo, v20, v17
	v_cndmask_b32_e32 v17, v23, v22, vcc_lo
	v_cmp_gt_f32_e32 vcc_lo, 0xf800000, v18
	v_add_f32_e32 v22, 1.0, v16
	v_add_nc_u32_e32 v17, v17, v20
	v_cndmask_b32_e32 v18, v18, v21, vcc_lo
	v_add_nc_u32_e32 v20, -1, v17
	v_cvt_f32_u32_e32 v20, v20
	v_fma_f32 v20, 0x30000000, v20, 0
	v_mul_f32_e32 v20, v20, v20
	v_fmac_f32_e32 v20, v19, v19
	v_sqrt_f32_e32 v19, v18
	v_mul_f32_e32 v21, 0x4f800000, v20
	v_cmp_gt_f32_e64 s0, 0xf800000, v20
	v_cndmask_b32_e64 v20, v20, v21, s0
	v_add_nc_u32_e32 v21, -1, v19
	v_add_nc_u32_e32 v23, 1, v19
	v_sqrt_f32_e32 v24, v20
	v_fma_f32 v25, -v21, v19, v18
	v_fma_f32 v26, -v23, v19, v18
	v_cmp_ge_f32_e64 s1, 0, v25
	v_cndmask_b32_e64 v19, v19, v21, s1
	v_cmp_lt_f32_e64 s1, 0, v26
	v_add_nc_u32_e32 v21, -1, v24
	v_cndmask_b32_e64 v19, v19, v23, s1
	v_add_nc_u32_e32 v23, 1, v24
	v_fma_f32 v25, -v21, v24, v20
	v_mul_f32_e32 v26, 0x37800000, v19
	v_fma_f32 v27, -v23, v24, v20
	v_cmp_ge_f32_e64 s1, 0, v25
	v_cndmask_b32_e32 v19, v19, v26, vcc_lo
	v_cmp_class_f32_e64 vcc_lo, v18, 0x260
	v_cndmask_b32_e64 v21, v24, v21, s1
	v_cmp_lt_f32_e64 s1, 0, v27
	v_cndmask_b32_e32 v18, v19, v18, vcc_lo
	v_cndmask_b32_e64 v21, v21, v23, s1
	v_cmp_nge_f32_e32 vcc_lo, 1.0, v18
	v_mul_f32_e32 v19, 0x37800000, v21
	v_cndmask_b32_e32 v16, v22, v16, vcc_lo
	v_cmp_class_f32_e64 vcc_lo, v20, 0x260
	v_cndmask_b32_e64 v18, v21, v19, s0
	v_add_f32_e32 v19, 1.0, v16
	v_cndmask_b32_e32 v18, v18, v20, vcc_lo
	v_cmp_nge_f32_e32 vcc_lo, 1.0, v18
	v_cndmask_b32_e32 v16, v19, v16, vcc_lo
	s_cbranch_scc1 .LBB35_110
; %bb.111:
	v_add_nc_u32_e32 v4, 0x7fc56c16, v4
	s_movk_i32 s2, 0x2710
	v_lshrrev_b32_e32 v17, 19, v4
	v_xor3_b32 v4, v4, v17, 0xc761c23c
	v_lshl_add_u32 v4, v4, 5, v4
	v_add_nc_u32_e32 v17, 0xe9f8cc1d, v4
	v_lshl_add_u32 v4, v4, 9, 0xaccf6200
	v_xor_b32_e32 v4, v17, v4
	v_lshlrev_b32_e32 v17, 3, v4
	v_add3_u32 v4, v4, v17, 0xfd7046c5
	v_lshrrev_b32_e32 v17, 16, v4
	v_xor3_b32 v4, v4, v17, 0xb55a4f09
	v_mul_hi_u32 v17, v4, 3
	v_sub_nc_u32_e32 v18, v4, v17
	v_lshrrev_b32_e32 v18, 1, v18
	v_add_nc_u32_e32 v17, v18, v17
	v_lshrrev_b32_e32 v17, 30, v17
	v_mul_lo_u32 v17, 0x7fffffff, v17
	v_sub_nc_u32_e32 v4, v4, v17
	v_max_u32_e32 v17, 1, v4
	v_mov_b32_e32 v4, 0
.LBB35_112:                             ; =>This Inner Loop Header: Depth=1
	v_mul_hi_u32 v18, 0xbc8f1391, v17
	s_add_i32 s2, s2, -2
	s_cmp_lg_u32 s2, 0
	v_lshrrev_b32_e32 v18, 15, v18
	v_mul_u32_u24_e32 v19, 0xadc8, v18
	v_mul_u32_u24_e32 v18, 0xd47, v18
	v_sub_nc_u32_e32 v17, v17, v19
	v_xor_b32_e32 v19, 0x7fffffff, v18
	v_sub_nc_u32_e32 v20, 0, v18
	v_mul_lo_u32 v17, 0xbc8f, v17
	v_cmp_lt_u32_e32 vcc_lo, v17, v18
	v_cndmask_b32_e32 v18, v20, v19, vcc_lo
	v_add_nc_u32_e32 v17, v18, v17
	v_mul_hi_u32 v18, 0xbc8f1391, v17
	v_lshrrev_b32_e32 v18, 15, v18
	v_mul_u32_u24_e32 v19, 0xadc8, v18
	v_mul_u32_u24_e32 v18, 0xd47, v18
	v_sub_nc_u32_e32 v19, v17, v19
	v_xor_b32_e32 v20, 0x7fffffff, v18
	v_sub_nc_u32_e32 v21, 0, v18
	v_add_nc_u32_e32 v17, -1, v17
	v_mul_lo_u32 v19, 0xbc8f, v19
	v_cvt_f32_u32_e32 v17, v17
	v_cmp_lt_u32_e32 vcc_lo, v19, v18
	v_cndmask_b32_e32 v18, v21, v20, vcc_lo
	v_add_nc_u32_e32 v18, v18, v19
	v_mul_hi_u32 v19, 0xbc8f1391, v18
	v_lshrrev_b32_e32 v19, 15, v19
	v_mul_u32_u24_e32 v20, 0xadc8, v19
	v_mul_u32_u24_e32 v19, 0xd47, v19
	v_sub_nc_u32_e32 v20, v18, v20
	v_xor_b32_e32 v21, 0x7fffffff, v19
	v_sub_nc_u32_e32 v22, 0, v19
	v_add_nc_u32_e32 v18, -1, v18
	v_mul_lo_u32 v20, 0xbc8f, v20
	v_cvt_f32_u32_e32 v18, v18
	v_fma_f32 v18, 0x30000000, v18, 0
	v_cmp_lt_u32_e32 vcc_lo, v20, v19
	v_mul_f32_e32 v18, v18, v18
	v_cndmask_b32_e32 v19, v22, v21, vcc_lo
	v_fma_f32 v21, 0x30000000, v17, 0
	v_add_nc_u32_e32 v19, v19, v20
	v_fmac_f32_e32 v18, v21, v21
	v_mul_hi_u32 v20, 0xbc8f1391, v19
	v_mul_f32_e32 v21, 0x4f800000, v18
	v_lshrrev_b32_e32 v17, 15, v20
	v_mul_u32_u24_e32 v20, 0xadc8, v17
	v_mul_u32_u24_e32 v17, 0xd47, v17
	v_sub_nc_u32_e32 v20, v19, v20
	v_xor_b32_e32 v22, 0x7fffffff, v17
	v_sub_nc_u32_e32 v23, 0, v17
	v_add_nc_u32_e32 v19, -1, v19
	v_mul_lo_u32 v20, 0xbc8f, v20
	v_cvt_f32_u32_e32 v19, v19
	v_fma_f32 v19, 0x30000000, v19, 0
	v_cmp_lt_u32_e32 vcc_lo, v20, v17
	v_cndmask_b32_e32 v17, v23, v22, vcc_lo
	v_cmp_gt_f32_e32 vcc_lo, 0xf800000, v18
	v_add_f32_e32 v22, 1.0, v4
	v_add_nc_u32_e32 v17, v17, v20
	v_cndmask_b32_e32 v18, v18, v21, vcc_lo
	v_add_nc_u32_e32 v20, -1, v17
	v_cvt_f32_u32_e32 v20, v20
	v_fma_f32 v20, 0x30000000, v20, 0
	v_mul_f32_e32 v20, v20, v20
	v_fmac_f32_e32 v20, v19, v19
	v_sqrt_f32_e32 v19, v18
	v_mul_f32_e32 v21, 0x4f800000, v20
	v_cmp_gt_f32_e64 s0, 0xf800000, v20
	v_cndmask_b32_e64 v20, v20, v21, s0
	v_add_nc_u32_e32 v21, -1, v19
	v_add_nc_u32_e32 v23, 1, v19
	v_sqrt_f32_e32 v24, v20
	v_fma_f32 v25, -v21, v19, v18
	v_fma_f32 v26, -v23, v19, v18
	v_cmp_ge_f32_e64 s1, 0, v25
	v_cndmask_b32_e64 v19, v19, v21, s1
	v_cmp_lt_f32_e64 s1, 0, v26
	v_add_nc_u32_e32 v21, -1, v24
	v_cndmask_b32_e64 v19, v19, v23, s1
	v_add_nc_u32_e32 v23, 1, v24
	v_fma_f32 v25, -v21, v24, v20
	v_mul_f32_e32 v26, 0x37800000, v19
	v_fma_f32 v27, -v23, v24, v20
	v_cmp_ge_f32_e64 s1, 0, v25
	v_cndmask_b32_e32 v19, v19, v26, vcc_lo
	v_cmp_class_f32_e64 vcc_lo, v18, 0x260
	v_cndmask_b32_e64 v21, v24, v21, s1
	v_cmp_lt_f32_e64 s1, 0, v27
	v_cndmask_b32_e32 v18, v19, v18, vcc_lo
	v_cndmask_b32_e64 v21, v21, v23, s1
	v_cmp_nge_f32_e32 vcc_lo, 1.0, v18
	v_mul_f32_e32 v19, 0x37800000, v21
	v_cndmask_b32_e32 v4, v22, v4, vcc_lo
	v_cmp_class_f32_e64 vcc_lo, v20, 0x260
	v_cndmask_b32_e64 v18, v21, v19, s0
	v_add_f32_e32 v19, 1.0, v4
	v_cndmask_b32_e32 v18, v18, v20, vcc_lo
	v_cmp_nge_f32_e32 vcc_lo, 1.0, v18
	v_cndmask_b32_e32 v4, v19, v4, vcc_lo
	s_cbranch_scc1 .LBB35_112
; %bb.113:
	v_mul_f32_e32 v11, 4.0, v11
	v_mul_f32_e32 v9, 4.0, v9
	v_mul_f32_e32 v8, 4.0, v8
	v_mul_f32_e32 v7, 4.0, v7
	v_mul_f32_e32 v6, 4.0, v6
	v_div_scale_f32 v17, null, 0x461c4000, 0x461c4000, v11
	v_div_scale_f32 v18, null, 0x461c4000, 0x461c4000, v9
	;; [unrolled: 1-line block ×3, first 2 shown]
	v_rcp_f32_e32 v20, v17
	v_rcp_f32_e32 v21, v18
	v_div_scale_f32 v23, vcc_lo, v11, 0x461c4000, v11
	v_rcp_f32_e32 v22, v19
	v_div_scale_f32 v24, null, 0x461c4000, 0x461c4000, v7
	v_div_scale_f32 v27, s0, v9, 0x461c4000, v9
	v_mul_f32_e32 v5, 4.0, v5
	v_fma_f32 v25, -v17, v20, 1.0
	v_fma_f32 v26, -v18, v21, 1.0
	v_rcp_f32_e32 v28, v24
	v_div_scale_f32 v34, s2, v7, 0x461c4000, v7
	v_fmac_f32_e32 v20, v25, v20
	v_fmac_f32_e32 v21, v26, v21
	v_fma_f32 v29, -v19, v22, 1.0
	v_div_scale_f32 v25, s1, v8, 0x461c4000, v8
	v_mul_f32_e32 v26, v23, v20
	v_mul_f32_e32 v3, 4.0, v3
	v_fmac_f32_e32 v22, v29, v22
	v_mul_f32_e32 v29, v27, v21
	v_fma_f32 v30, -v24, v28, 1.0
	v_fma_f32 v32, -v17, v26, v23
	v_mul_f32_e32 v2, 4.0, v2
	v_mul_f32_e32 v31, v25, v22
	v_fma_f32 v33, -v18, v29, v27
	v_fmac_f32_e32 v28, v30, v28
	v_fmac_f32_e32 v26, v32, v20
	v_div_scale_f32 v32, null, 0x461c4000, 0x461c4000, v6
	v_fma_f32 v30, -v19, v31, v25
	v_fmac_f32_e32 v29, v33, v21
	v_fma_f32 v17, -v17, v26, v23
	v_mul_f32_e32 v23, v34, v28
	v_mul_f32_e32 v1, 4.0, v1
	v_fmac_f32_e32 v31, v30, v22
	v_fma_f32 v18, -v18, v29, v27
	v_div_fmas_f32 v17, v17, v20, v26
	v_rcp_f32_e32 v27, v32
	s_mov_b32 vcc_lo, s0
	v_fma_f32 v19, -v19, v31, v25
	v_div_fmas_f32 v18, v18, v21, v29
	v_div_fixup_f32 v11, v17, 0x461c4000, v11
	v_div_scale_f32 v17, null, 0x461c4000, 0x461c4000, v5
	s_mov_b32 vcc_lo, s1
	v_div_fixup_f32 v9, v18, 0x461c4000, v9
	v_div_fmas_f32 v19, v19, v22, v31
	v_rcp_f32_e32 v21, v17
	v_fma_f32 v20, -v32, v27, 1.0
	v_fma_f32 v22, -v24, v23, v34
	s_mov_b32 vcc_lo, s2
	v_div_fixup_f32 v8, v19, 0x461c4000, v8
	v_mul_f32_e32 v10, 4.0, v10
	v_fmac_f32_e32 v27, v20, v27
	v_div_scale_f32 v20, s0, v6, 0x461c4000, v6
	v_fmac_f32_e32 v23, v22, v28
	v_fma_f32 v19, -v17, v21, 1.0
	v_div_scale_f32 v30, null, 0x461c4000, 0x461c4000, v10
	v_mul_f32_e32 v18, v20, v27
	v_fma_f32 v22, -v24, v23, v34
	v_div_scale_f32 v24, null, 0x461c4000, 0x461c4000, v3
	v_fmac_f32_e32 v21, v19, v21
	v_div_scale_f32 v19, s1, v5, 0x461c4000, v5
	v_fma_f32 v25, -v32, v18, v20
	v_rcp_f32_e32 v26, v24
	v_div_fmas_f32 v22, v22, v28, v23
	v_mul_f32_e32 v23, v19, v21
	s_mov_b32 vcc_lo, s0
	v_fmac_f32_e32 v18, v25, v27
	v_div_scale_f32 v25, null, 0x461c4000, 0x461c4000, v2
	v_div_fixup_f32 v7, v22, 0x461c4000, v7
	v_fma_f32 v22, -v17, v23, v19
	v_fma_f32 v20, -v32, v18, v20
	v_fma_f32 v28, -v24, v26, 1.0
	v_rcp_f32_e32 v29, v25
	v_mul_f32_e32 v12, 4.0, v12
	v_fmac_f32_e32 v23, v22, v21
	v_div_scale_f32 v22, null, 0x461c4000, 0x461c4000, v1
	v_div_fmas_f32 v18, v20, v27, v18
	v_fmac_f32_e32 v26, v28, v26
	v_div_scale_f32 v20, s0, v3, 0x461c4000, v3
	v_fma_f32 v17, -v17, v23, v19
	v_rcp_f32_e32 v19, v22
	v_div_fixup_f32 v6, v18, 0x461c4000, v6
	v_mul_f32_e32 v18, v20, v26
	v_fma_f32 v27, -v25, v29, 1.0
	s_mov_b32 vcc_lo, s1
	v_div_scale_f32 v31, null, 0x461c4000, 0x461c4000, v12
	v_div_fmas_f32 v17, v17, v21, v23
	v_fma_f32 v21, -v24, v18, v20
	v_fmac_f32_e32 v29, v27, v29
	v_fma_f32 v28, -v22, v19, 1.0
	v_div_scale_f32 v27, s2, v2, 0x461c4000, v2
	v_fmac_f32_e32 v18, v21, v26
	v_div_fixup_f32 v5, v17, 0x461c4000, v5
	v_fmac_f32_e32 v19, v28, v19
	v_rcp_f32_e32 v28, v30
	v_mul_f32_e32 v23, v27, v29
	v_fma_f32 v17, -v24, v18, v20
	v_rcp_f32_e32 v20, v31
	v_div_scale_f32 v32, s1, v1, 0x461c4000, v1
	v_fma_f32 v21, -v25, v23, v27
	v_mul_f32_e32 v13, 4.0, v13
	s_mov_b32 vcc_lo, s0
	v_mul_f32_e32 v14, 4.0, v14
	v_fma_f32 v24, -v30, v28, 1.0
	v_fmac_f32_e32 v23, v21, v29
	v_mul_f32_e32 v21, v32, v19
	v_div_fmas_f32 v17, v17, v26, v18
	v_div_scale_f32 v26, null, 0x461c4000, 0x461c4000, v13
	v_fmac_f32_e32 v28, v24, v28
	v_fma_f32 v24, -v31, v20, 1.0
	v_fma_f32 v18, -v25, v23, v27
	v_fma_f32 v25, -v22, v21, v32
	v_div_scale_f32 v27, s0, v10, 0x461c4000, v10
	v_fmac_f32_e32 v20, v24, v20
	v_div_scale_f32 v24, s3, v12, 0x461c4000, v12
	v_rcp_f32_e32 v33, v26
	s_mov_b32 vcc_lo, s2
	v_fmac_f32_e32 v21, v25, v19
	v_div_fmas_f32 v18, v18, v29, v23
	v_mul_f32_e32 v23, v27, v28
	v_mul_f32_e32 v25, v24, v20
	v_div_fixup_f32 v3, v17, 0x461c4000, v3
	v_fma_f32 v17, -v22, v21, v32
	v_div_fixup_f32 v2, v18, 0x461c4000, v2
	v_fma_f32 v18, -v30, v23, v27
	v_fma_f32 v22, -v31, v25, v24
	v_fma_f32 v29, -v26, v33, 1.0
	s_mov_b32 vcc_lo, s1
	v_mul_f32_e32 v15, 4.0, v15
	v_div_fmas_f32 v17, v17, v19, v21
	v_fmac_f32_e32 v23, v18, v28
	v_fmac_f32_e32 v25, v22, v20
	;; [unrolled: 1-line block ×3, first 2 shown]
	v_div_scale_f32 v18, s1, v13, 0x461c4000, v13
	v_div_fixup_f32 v1, v17, 0x461c4000, v1
	v_fma_f32 v17, -v30, v23, v27
	v_fma_f32 v21, -v31, v25, v24
	v_mul_f32_e32 v22, v18, v33
	s_mov_b32 vcc_lo, s0
	v_div_scale_f32 v19, null, 0x461c4000, 0x461c4000, v14
	v_div_fmas_f32 v17, v17, v28, v23
	s_mov_b32 vcc_lo, s3
	v_fma_f32 v23, -v26, v22, v18
	v_div_fmas_f32 v20, v21, v20, v25
	v_rcp_f32_e32 v24, v19
	v_add_f32_e32 v1, v1, v2
	v_mul_f32_e32 v16, 4.0, v16
	v_fmac_f32_e32 v22, v23, v33
	v_div_fixup_f32 v12, v20, 0x461c4000, v12
	v_div_scale_f32 v20, null, 0x461c4000, 0x461c4000, v15
	v_add_f32_e32 v1, v1, v3
	v_fma_f32 v18, -v26, v22, v18
	s_mov_b32 vcc_lo, s1
	v_rcp_f32_e32 v21, v20
	v_div_fixup_f32 v10, v17, 0x461c4000, v10
	v_fma_f32 v17, -v19, v24, 1.0
	v_div_fmas_f32 v2, v18, v33, v22
	v_div_scale_f32 v18, null, 0x461c4000, 0x461c4000, v16
	v_mul_f32_e32 v4, 4.0, v4
	v_add_f32_e32 v1, v1, v5
	v_fmac_f32_e32 v24, v17, v24
	v_div_scale_f32 v17, s0, v14, 0x461c4000, v14
	v_fma_f32 v22, -v20, v21, 1.0
	v_rcp_f32_e32 v23, v18
	v_div_scale_f32 v25, null, 0x461c4000, 0x461c4000, v4
	v_add_f32_e32 v1, v1, v6
	v_mul_f32_e32 v3, v17, v24
	v_fmac_f32_e32 v21, v22, v21
	v_rcp_f32_e32 v22, v25
	v_div_scale_f32 v6, s1, v15, 0x461c4000, v15
	v_add_f32_e32 v1, v1, v7
	v_fma_f32 v5, -v19, v3, v17
	v_fma_f32 v26, -v18, v23, 1.0
	v_div_scale_f32 v7, s2, v16, 0x461c4000, v16
	v_add_f32_e32 v1, v1, v8
	v_fmac_f32_e32 v3, v5, v24
	v_mul_f32_e32 v5, v6, v21
	v_fmac_f32_e32 v23, v26, v23
	v_fma_f32 v8, -v25, v22, 1.0
	v_add_f32_e32 v1, v1, v9
	v_div_fixup_f32 v2, v2, 0x461c4000, v13
	v_fma_f32 v13, -v19, v3, v17
	v_fma_f32 v17, -v20, v5, v6
	v_mul_f32_e32 v9, v7, v23
	v_fmac_f32_e32 v22, v8, v22
	v_div_scale_f32 v8, s3, v4, 0x461c4000, v4
	v_add_f32_e32 v1, v1, v11
	s_mov_b32 vcc_lo, s0
	v_fmac_f32_e32 v5, v17, v21
	v_div_fmas_f32 v3, v13, v24, v3
	v_fma_f32 v11, -v18, v9, v7
	v_mul_f32_e32 v13, v8, v22
	v_add_f32_e32 v1, v1, v10
	v_fma_f32 v6, -v20, v5, v6
	s_mov_b32 vcc_lo, s1
	v_fmac_f32_e32 v9, v11, v23
	v_fma_f32 v10, -v25, v13, v8
	v_add_f32_e32 v1, v1, v12
	v_div_fixup_f32 v3, v3, 0x461c4000, v14
	v_div_fmas_f32 v5, v6, v21, v5
	v_fma_f32 v6, -v18, v9, v7
	v_fmac_f32_e32 v13, v10, v22
	v_add_f32_e32 v1, v1, v2
	s_mov_b32 vcc_lo, s2
	v_div_fixup_f32 v5, v5, 0x461c4000, v15
	v_div_fmas_f32 v2, v6, v23, v9
	v_fma_f32 v6, -v25, v13, v8
	v_add_f32_e32 v1, v1, v3
	s_mov_b32 vcc_lo, s3
	s_mov_b32 s0, exec_lo
	v_div_fixup_f32 v2, v2, 0x461c4000, v16
	v_div_fmas_f32 v3, v6, v22, v13
	v_add_f32_e32 v1, v1, v5
	v_div_fixup_f32 v3, v3, 0x461c4000, v4
	v_add_f32_e32 v1, v1, v2
	v_add_f32_e32 v1, v1, v3
	v_mov_b32_dpp v2, v1 quad_perm:[1,0,3,2] row_mask:0xf bank_mask:0xf
	v_add_f32_e32 v1, v1, v2
	v_mov_b32_dpp v2, v1 quad_perm:[2,3,0,1] row_mask:0xf bank_mask:0xf
	v_add_f32_e32 v1, v1, v2
	v_mov_b32_dpp v2, v1 row_ror:4 row_mask:0xf bank_mask:0xf
	v_add_f32_e32 v1, v1, v2
	v_mov_b32_dpp v2, v1 row_ror:8 row_mask:0xf bank_mask:0xf
	v_add_f32_e32 v1, v1, v2
	ds_swizzle_b32 v2, v1 offset:swizzle(BROADCAST,32,15)
	s_waitcnt lgkmcnt(0)
	v_add_f32_e32 v1, v1, v2
	v_mov_b32_e32 v2, 0
	ds_bpermute_b32 v1, v2, v1 offset:124
	v_mbcnt_lo_u32_b32 v2, -1, 0
	v_cmpx_eq_u32_e32 0, v2
	s_cbranch_execz .LBB35_115
; %bb.114:
	v_lshrrev_b32_e32 v3, 3, v0
	v_and_b32_e32 v3, 28, v3
	s_waitcnt lgkmcnt(0)
	ds_write_b32 v3, v1
.LBB35_115:
	s_or_b32 exec_lo, exec_lo, s0
	s_mov_b32 s0, exec_lo
	s_waitcnt lgkmcnt(0)
	s_barrier
	buffer_gl0_inv
	v_cmpx_gt_u32_e32 32, v0
	s_cbranch_execz .LBB35_117
; %bb.116:
	v_and_b32_e32 v1, 7, v2
	v_lshlrev_b32_e32 v3, 2, v1
	v_cmp_ne_u32_e32 vcc_lo, 7, v1
	ds_read_b32 v3, v3
	v_add_co_ci_u32_e64 v4, null, 0, v2, vcc_lo
	v_cmp_gt_u32_e32 vcc_lo, 6, v1
	v_lshlrev_b32_e32 v4, 2, v4
	v_cndmask_b32_e64 v1, 0, 2, vcc_lo
	v_add_lshl_u32 v1, v1, v2, 2
	v_lshlrev_b32_e32 v2, 2, v2
	v_or_b32_e32 v2, 16, v2
	s_waitcnt lgkmcnt(0)
	ds_bpermute_b32 v4, v4, v3
	s_waitcnt lgkmcnt(0)
	v_add_f32_e32 v3, v3, v4
	ds_bpermute_b32 v1, v1, v3
	s_waitcnt lgkmcnt(0)
	v_add_f32_e32 v1, v3, v1
	ds_bpermute_b32 v2, v2, v1
	s_waitcnt lgkmcnt(0)
	v_add_f32_e32 v1, v1, v2
.LBB35_117:
	s_or_b32 exec_lo, exec_lo, s0
	s_mov_b32 s0, 0
	s_branch .LBB35_255
.LBB35_118:
                                        ; implicit-def: $vgpr1
	s_branch .LBB35_350
.LBB35_119:
                                        ; implicit-def: $vgpr1
	s_cbranch_execz .LBB35_74
; %bb.120:
	v_mov_b32_e32 v1, 0
	s_sub_i32 s45, s40, s8
	v_cmp_gt_u32_e32 vcc_lo, s45, v0
	v_mov_b32_e32 v2, v1
	v_mov_b32_e32 v4, v1
	;; [unrolled: 1-line block ×31, first 2 shown]
	s_and_saveexec_b32 s2, vcc_lo
	s_cbranch_execz .LBB35_124
; %bb.121:
	v_add_nc_u32_e32 v2, s37, v0
	s_movk_i32 s3, 0x2710
	v_lshlrev_b32_e32 v3, 12, v2
	v_add3_u32 v2, v2, v3, 0x7ed55d16
	v_lshrrev_b32_e32 v3, 19, v2
	v_xor3_b32 v2, v2, v3, 0xc761c23c
	v_lshl_add_u32 v2, v2, 5, v2
	v_add_nc_u32_e32 v3, 0xe9f8cc1d, v2
	v_lshl_add_u32 v2, v2, 9, 0xaccf6200
	v_xor_b32_e32 v2, v3, v2
	v_lshlrev_b32_e32 v3, 3, v2
	v_add3_u32 v2, v2, v3, 0xfd7046c5
	v_lshrrev_b32_e32 v3, 16, v2
	v_xor3_b32 v2, v2, v3, 0xb55a4f09
	v_mul_hi_u32 v3, v2, 3
	v_sub_nc_u32_e32 v4, v2, v3
	v_lshrrev_b32_e32 v4, 1, v4
	v_add_nc_u32_e32 v3, v4, v3
	v_lshrrev_b32_e32 v3, 30, v3
	v_mul_lo_u32 v3, 0x7fffffff, v3
	v_sub_nc_u32_e32 v2, v2, v3
	v_max_u32_e32 v2, 1, v2
.LBB35_122:                             ; =>This Inner Loop Header: Depth=1
	v_mul_hi_u32 v3, 0xbc8f1391, v2
	s_add_i32 s3, s3, -2
	s_cmp_lg_u32 s3, 0
	v_lshrrev_b32_e32 v3, 15, v3
	v_mul_u32_u24_e32 v4, 0xadc8, v3
	v_mul_u32_u24_e32 v3, 0xd47, v3
	v_sub_nc_u32_e32 v2, v2, v4
	v_xor_b32_e32 v4, 0x7fffffff, v3
	v_sub_nc_u32_e32 v5, 0, v3
	v_mul_lo_u32 v2, 0xbc8f, v2
	v_cmp_lt_u32_e32 vcc_lo, v2, v3
	v_cndmask_b32_e32 v3, v5, v4, vcc_lo
	v_add_nc_u32_e32 v2, v3, v2
	v_mul_hi_u32 v3, 0xbc8f1391, v2
	v_lshrrev_b32_e32 v3, 15, v3
	v_mul_u32_u24_e32 v4, 0xadc8, v3
	v_mul_u32_u24_e32 v3, 0xd47, v3
	v_sub_nc_u32_e32 v4, v2, v4
	v_xor_b32_e32 v5, 0x7fffffff, v3
	v_sub_nc_u32_e32 v6, 0, v3
	v_add_nc_u32_e32 v2, -1, v2
	v_mul_lo_u32 v4, 0xbc8f, v4
	v_cvt_f32_u32_e32 v2, v2
	v_cmp_lt_u32_e32 vcc_lo, v4, v3
	v_cndmask_b32_e32 v3, v6, v5, vcc_lo
	v_add_nc_u32_e32 v3, v3, v4
	v_mul_hi_u32 v4, 0xbc8f1391, v3
	v_lshrrev_b32_e32 v4, 15, v4
	v_mul_u32_u24_e32 v5, 0xadc8, v4
	v_mul_u32_u24_e32 v4, 0xd47, v4
	v_sub_nc_u32_e32 v5, v3, v5
	v_xor_b32_e32 v6, 0x7fffffff, v4
	v_sub_nc_u32_e32 v7, 0, v4
	v_add_nc_u32_e32 v3, -1, v3
	v_mul_lo_u32 v5, 0xbc8f, v5
	v_cvt_f32_u32_e32 v3, v3
	v_fma_f32 v3, 0x30000000, v3, 0
	v_cmp_lt_u32_e32 vcc_lo, v5, v4
	v_mul_f32_e32 v3, v3, v3
	v_cndmask_b32_e32 v4, v7, v6, vcc_lo
	v_fma_f32 v6, 0x30000000, v2, 0
	v_add_nc_u32_e32 v4, v4, v5
	v_fmac_f32_e32 v3, v6, v6
	v_mul_hi_u32 v5, 0xbc8f1391, v4
	v_mul_f32_e32 v6, 0x4f800000, v3
	v_lshrrev_b32_e32 v2, 15, v5
	v_mul_u32_u24_e32 v5, 0xadc8, v2
	v_mul_u32_u24_e32 v2, 0xd47, v2
	v_sub_nc_u32_e32 v5, v4, v5
	v_xor_b32_e32 v7, 0x7fffffff, v2
	v_sub_nc_u32_e32 v8, 0, v2
	v_add_nc_u32_e32 v4, -1, v4
	v_mul_lo_u32 v5, 0xbc8f, v5
	v_cvt_f32_u32_e32 v4, v4
	v_fma_f32 v4, 0x30000000, v4, 0
	v_cmp_lt_u32_e32 vcc_lo, v5, v2
	v_cndmask_b32_e32 v2, v8, v7, vcc_lo
	v_cmp_gt_f32_e32 vcc_lo, 0xf800000, v3
	v_add_f32_e32 v7, 1.0, v1
	v_add_nc_u32_e32 v2, v2, v5
	v_cndmask_b32_e32 v3, v3, v6, vcc_lo
	v_add_nc_u32_e32 v5, -1, v2
	v_cvt_f32_u32_e32 v5, v5
	v_fma_f32 v5, 0x30000000, v5, 0
	v_mul_f32_e32 v5, v5, v5
	v_fmac_f32_e32 v5, v4, v4
	v_sqrt_f32_e32 v4, v3
	v_mul_f32_e32 v6, 0x4f800000, v5
	v_cmp_gt_f32_e64 s0, 0xf800000, v5
	v_cndmask_b32_e64 v5, v5, v6, s0
	v_add_nc_u32_e32 v6, -1, v4
	v_add_nc_u32_e32 v8, 1, v4
	v_sqrt_f32_e32 v9, v5
	v_fma_f32 v10, -v6, v4, v3
	v_fma_f32 v11, -v8, v4, v3
	v_cmp_ge_f32_e64 s1, 0, v10
	v_cndmask_b32_e64 v4, v4, v6, s1
	v_cmp_lt_f32_e64 s1, 0, v11
	v_add_nc_u32_e32 v6, -1, v9
	v_cndmask_b32_e64 v4, v4, v8, s1
	v_add_nc_u32_e32 v8, 1, v9
	v_fma_f32 v10, -v6, v9, v5
	v_mul_f32_e32 v11, 0x37800000, v4
	v_fma_f32 v12, -v8, v9, v5
	v_cmp_ge_f32_e64 s1, 0, v10
	v_cndmask_b32_e32 v4, v4, v11, vcc_lo
	v_cmp_class_f32_e64 vcc_lo, v3, 0x260
	v_cndmask_b32_e64 v6, v9, v6, s1
	v_cmp_lt_f32_e64 s1, 0, v12
	v_cndmask_b32_e32 v3, v4, v3, vcc_lo
	v_cndmask_b32_e64 v6, v6, v8, s1
	v_cmp_nge_f32_e32 vcc_lo, 1.0, v3
	v_mul_f32_e32 v4, 0x37800000, v6
	v_cndmask_b32_e32 v1, v7, v1, vcc_lo
	v_cmp_class_f32_e64 vcc_lo, v5, 0x260
	v_cndmask_b32_e64 v3, v6, v4, s0
	v_add_f32_e32 v4, 1.0, v1
	v_cndmask_b32_e32 v3, v3, v5, vcc_lo
	v_cmp_nge_f32_e32 vcc_lo, 1.0, v3
	v_cndmask_b32_e32 v1, v4, v1, vcc_lo
	s_cbranch_scc1 .LBB35_122
; %bb.123:
	v_mul_f32_e32 v1, 4.0, v1
	v_mov_b32_e32 v2, 0
	v_div_scale_f32 v3, null, 0x461c4000, 0x461c4000, v1
	v_div_scale_f32 v27, vcc_lo, v1, 0x461c4000, v1
	v_mov_b32_e32 v4, v2
	v_rcp_f32_e32 v29, v3
	v_mov_b32_e32 v5, v2
	v_mov_b32_e32 v6, v2
	;; [unrolled: 1-line block ×9, first 2 shown]
	v_fma_f32 v11, -v3, v29, 1.0
	v_mov_b32_e32 v15, v2
	v_mov_b32_e32 v16, v2
	;; [unrolled: 1-line block ×4, first 2 shown]
	v_fmac_f32_e32 v29, v11, v29
	v_mov_b32_e32 v11, v2
	v_mov_b32_e32 v19, v2
	;; [unrolled: 1-line block ×4, first 2 shown]
	v_mul_f32_e32 v30, v27, v29
	v_mov_b32_e32 v22, v2
	v_mov_b32_e32 v24, v2
	;; [unrolled: 1-line block ×4, first 2 shown]
	v_fma_f32 v23, -v3, v30, v27
	v_mov_b32_e32 v28, v2
	v_mov_b32_e32 v31, v2
	;; [unrolled: 1-line block ×3, first 2 shown]
	v_fmac_f32_e32 v30, v23, v29
	v_mov_b32_e32 v23, v2
	v_fma_f32 v3, -v3, v30, v27
	v_mov_b32_e32 v27, v2
	v_div_fmas_f32 v3, v3, v29, v30
	v_mov_b32_e32 v29, v2
	v_mov_b32_e32 v30, v2
	v_div_fixup_f32 v1, v3, 0x461c4000, v1
	v_mov_b32_e32 v3, v2
.LBB35_124:
	s_or_b32 exec_lo, exec_lo, s2
	v_or_b32_e32 v33, 0x100, v0
	v_cmp_gt_u32_e64 s0, s45, v33
	s_and_saveexec_b32 s3, s0
	s_cbranch_execz .LBB35_128
; %bb.125:
	v_add_nc_u32_e32 v2, s37, v33
	s_movk_i32 s8, 0x2710
	v_lshlrev_b32_e32 v33, 12, v2
	v_add3_u32 v2, v2, v33, 0x7ed55d16
	v_lshrrev_b32_e32 v33, 19, v2
	v_xor3_b32 v2, v2, v33, 0xc761c23c
	v_lshl_add_u32 v2, v2, 5, v2
	v_add_nc_u32_e32 v33, 0xe9f8cc1d, v2
	v_lshl_add_u32 v2, v2, 9, 0xaccf6200
	v_xor_b32_e32 v2, v33, v2
	v_lshlrev_b32_e32 v33, 3, v2
	v_add3_u32 v2, v2, v33, 0xfd7046c5
	v_lshrrev_b32_e32 v33, 16, v2
	v_xor3_b32 v2, v2, v33, 0xb55a4f09
	v_mul_hi_u32 v33, v2, 3
	v_sub_nc_u32_e32 v34, v2, v33
	v_lshrrev_b32_e32 v34, 1, v34
	v_add_nc_u32_e32 v33, v34, v33
	v_lshrrev_b32_e32 v33, 30, v33
	v_mul_lo_u32 v33, 0x7fffffff, v33
	v_sub_nc_u32_e32 v2, v2, v33
	v_max_u32_e32 v33, 1, v2
	v_mov_b32_e32 v2, 0
.LBB35_126:                             ; =>This Inner Loop Header: Depth=1
	v_mul_hi_u32 v34, 0xbc8f1391, v33
	s_add_i32 s8, s8, -2
	s_cmp_lg_u32 s8, 0
	v_lshrrev_b32_e32 v34, 15, v34
	v_mul_u32_u24_e32 v35, 0xadc8, v34
	v_mul_u32_u24_e32 v34, 0xd47, v34
	v_sub_nc_u32_e32 v33, v33, v35
	v_xor_b32_e32 v35, 0x7fffffff, v34
	v_sub_nc_u32_e32 v36, 0, v34
	v_mul_lo_u32 v33, 0xbc8f, v33
	v_cmp_lt_u32_e32 vcc_lo, v33, v34
	v_cndmask_b32_e32 v34, v36, v35, vcc_lo
	v_add_nc_u32_e32 v33, v34, v33
	v_mul_hi_u32 v34, 0xbc8f1391, v33
	v_lshrrev_b32_e32 v34, 15, v34
	v_mul_u32_u24_e32 v35, 0xadc8, v34
	v_mul_u32_u24_e32 v34, 0xd47, v34
	v_sub_nc_u32_e32 v35, v33, v35
	v_xor_b32_e32 v36, 0x7fffffff, v34
	v_sub_nc_u32_e32 v37, 0, v34
	v_add_nc_u32_e32 v33, -1, v33
	v_mul_lo_u32 v35, 0xbc8f, v35
	v_cvt_f32_u32_e32 v33, v33
	v_cmp_lt_u32_e32 vcc_lo, v35, v34
	v_cndmask_b32_e32 v34, v37, v36, vcc_lo
	v_add_nc_u32_e32 v34, v34, v35
	v_mul_hi_u32 v35, 0xbc8f1391, v34
	v_lshrrev_b32_e32 v35, 15, v35
	v_mul_u32_u24_e32 v36, 0xadc8, v35
	v_mul_u32_u24_e32 v35, 0xd47, v35
	v_sub_nc_u32_e32 v36, v34, v36
	v_xor_b32_e32 v37, 0x7fffffff, v35
	v_sub_nc_u32_e32 v38, 0, v35
	v_add_nc_u32_e32 v34, -1, v34
	v_mul_lo_u32 v36, 0xbc8f, v36
	v_cvt_f32_u32_e32 v34, v34
	v_fma_f32 v34, 0x30000000, v34, 0
	v_cmp_lt_u32_e32 vcc_lo, v36, v35
	v_mul_f32_e32 v34, v34, v34
	v_cndmask_b32_e32 v35, v38, v37, vcc_lo
	v_fma_f32 v37, 0x30000000, v33, 0
	v_add_nc_u32_e32 v35, v35, v36
	v_fmac_f32_e32 v34, v37, v37
	v_mul_hi_u32 v36, 0xbc8f1391, v35
	v_mul_f32_e32 v37, 0x4f800000, v34
	v_lshrrev_b32_e32 v33, 15, v36
	v_mul_u32_u24_e32 v36, 0xadc8, v33
	v_mul_u32_u24_e32 v33, 0xd47, v33
	v_sub_nc_u32_e32 v36, v35, v36
	v_xor_b32_e32 v38, 0x7fffffff, v33
	v_sub_nc_u32_e32 v39, 0, v33
	v_add_nc_u32_e32 v35, -1, v35
	v_mul_lo_u32 v36, 0xbc8f, v36
	v_cvt_f32_u32_e32 v35, v35
	v_fma_f32 v35, 0x30000000, v35, 0
	v_cmp_lt_u32_e32 vcc_lo, v36, v33
	v_cndmask_b32_e32 v33, v39, v38, vcc_lo
	v_cmp_gt_f32_e32 vcc_lo, 0xf800000, v34
	v_add_f32_e32 v38, 1.0, v2
	v_add_nc_u32_e32 v33, v33, v36
	v_cndmask_b32_e32 v34, v34, v37, vcc_lo
	v_add_nc_u32_e32 v36, -1, v33
	v_cvt_f32_u32_e32 v36, v36
	v_fma_f32 v36, 0x30000000, v36, 0
	v_mul_f32_e32 v36, v36, v36
	v_fmac_f32_e32 v36, v35, v35
	v_sqrt_f32_e32 v35, v34
	v_mul_f32_e32 v37, 0x4f800000, v36
	v_cmp_gt_f32_e64 s1, 0xf800000, v36
	v_cndmask_b32_e64 v36, v36, v37, s1
	v_add_nc_u32_e32 v37, -1, v35
	v_add_nc_u32_e32 v39, 1, v35
	v_sqrt_f32_e32 v40, v36
	v_fma_f32 v41, -v37, v35, v34
	v_fma_f32 v42, -v39, v35, v34
	v_cmp_ge_f32_e64 s2, 0, v41
	v_cndmask_b32_e64 v35, v35, v37, s2
	v_cmp_lt_f32_e64 s2, 0, v42
	v_add_nc_u32_e32 v37, -1, v40
	v_cndmask_b32_e64 v35, v35, v39, s2
	v_add_nc_u32_e32 v39, 1, v40
	v_fma_f32 v41, -v37, v40, v36
	v_mul_f32_e32 v42, 0x37800000, v35
	v_fma_f32 v43, -v39, v40, v36
	v_cmp_ge_f32_e64 s2, 0, v41
	v_cndmask_b32_e32 v35, v35, v42, vcc_lo
	v_cmp_class_f32_e64 vcc_lo, v34, 0x260
	v_cndmask_b32_e64 v37, v40, v37, s2
	v_cmp_lt_f32_e64 s2, 0, v43
	v_cndmask_b32_e32 v34, v35, v34, vcc_lo
	v_cndmask_b32_e64 v37, v37, v39, s2
	v_cmp_nge_f32_e32 vcc_lo, 1.0, v34
	v_mul_f32_e32 v35, 0x37800000, v37
	v_cndmask_b32_e32 v2, v38, v2, vcc_lo
	v_cmp_class_f32_e64 vcc_lo, v36, 0x260
	v_cndmask_b32_e64 v34, v37, v35, s1
	v_add_f32_e32 v35, 1.0, v2
	v_cndmask_b32_e32 v34, v34, v36, vcc_lo
	v_cmp_nge_f32_e32 vcc_lo, 1.0, v34
	v_cndmask_b32_e32 v2, v35, v2, vcc_lo
	s_cbranch_scc1 .LBB35_126
; %bb.127:
	v_mul_f32_e32 v2, 4.0, v2
	v_div_scale_f32 v33, null, 0x461c4000, 0x461c4000, v2
	v_rcp_f32_e32 v34, v33
	v_fma_f32 v35, -v33, v34, 1.0
	v_fmac_f32_e32 v34, v35, v34
	v_div_scale_f32 v35, vcc_lo, v2, 0x461c4000, v2
	v_mul_f32_e32 v36, v35, v34
	v_fma_f32 v37, -v33, v36, v35
	v_fmac_f32_e32 v36, v37, v34
	v_fma_f32 v33, -v33, v36, v35
	v_div_fmas_f32 v33, v33, v34, v36
	v_div_fixup_f32 v2, v33, 0x461c4000, v2
.LBB35_128:
	s_or_b32 exec_lo, exec_lo, s3
	v_or_b32_e32 v33, 0x200, v0
	v_cmp_gt_u32_e64 s1, s45, v33
	s_and_saveexec_b32 s8, s1
	s_cbranch_execz .LBB35_132
; %bb.129:
	v_add_nc_u32_e32 v4, s37, v33
	s_movk_i32 s9, 0x2710
	v_lshlrev_b32_e32 v33, 12, v4
	v_add3_u32 v4, v4, v33, 0x7ed55d16
	v_lshrrev_b32_e32 v33, 19, v4
	v_xor3_b32 v4, v4, v33, 0xc761c23c
	v_lshl_add_u32 v4, v4, 5, v4
	v_add_nc_u32_e32 v33, 0xe9f8cc1d, v4
	v_lshl_add_u32 v4, v4, 9, 0xaccf6200
	v_xor_b32_e32 v4, v33, v4
	v_lshlrev_b32_e32 v33, 3, v4
	v_add3_u32 v4, v4, v33, 0xfd7046c5
	v_lshrrev_b32_e32 v33, 16, v4
	v_xor3_b32 v4, v4, v33, 0xb55a4f09
	v_mul_hi_u32 v33, v4, 3
	v_sub_nc_u32_e32 v34, v4, v33
	v_lshrrev_b32_e32 v34, 1, v34
	v_add_nc_u32_e32 v33, v34, v33
	v_lshrrev_b32_e32 v33, 30, v33
	v_mul_lo_u32 v33, 0x7fffffff, v33
	v_sub_nc_u32_e32 v4, v4, v33
	v_max_u32_e32 v33, 1, v4
	v_mov_b32_e32 v4, 0
.LBB35_130:                             ; =>This Inner Loop Header: Depth=1
	v_mul_hi_u32 v34, 0xbc8f1391, v33
	s_add_i32 s9, s9, -2
	s_cmp_lg_u32 s9, 0
	v_lshrrev_b32_e32 v34, 15, v34
	v_mul_u32_u24_e32 v35, 0xadc8, v34
	v_mul_u32_u24_e32 v34, 0xd47, v34
	v_sub_nc_u32_e32 v33, v33, v35
	v_xor_b32_e32 v35, 0x7fffffff, v34
	v_sub_nc_u32_e32 v36, 0, v34
	v_mul_lo_u32 v33, 0xbc8f, v33
	v_cmp_lt_u32_e32 vcc_lo, v33, v34
	v_cndmask_b32_e32 v34, v36, v35, vcc_lo
	v_add_nc_u32_e32 v33, v34, v33
	v_mul_hi_u32 v34, 0xbc8f1391, v33
	v_lshrrev_b32_e32 v34, 15, v34
	v_mul_u32_u24_e32 v35, 0xadc8, v34
	v_mul_u32_u24_e32 v34, 0xd47, v34
	v_sub_nc_u32_e32 v35, v33, v35
	v_xor_b32_e32 v36, 0x7fffffff, v34
	v_sub_nc_u32_e32 v37, 0, v34
	v_add_nc_u32_e32 v33, -1, v33
	v_mul_lo_u32 v35, 0xbc8f, v35
	v_cvt_f32_u32_e32 v33, v33
	v_cmp_lt_u32_e32 vcc_lo, v35, v34
	v_cndmask_b32_e32 v34, v37, v36, vcc_lo
	v_add_nc_u32_e32 v34, v34, v35
	v_mul_hi_u32 v35, 0xbc8f1391, v34
	v_lshrrev_b32_e32 v35, 15, v35
	v_mul_u32_u24_e32 v36, 0xadc8, v35
	v_mul_u32_u24_e32 v35, 0xd47, v35
	v_sub_nc_u32_e32 v36, v34, v36
	v_xor_b32_e32 v37, 0x7fffffff, v35
	v_sub_nc_u32_e32 v38, 0, v35
	v_add_nc_u32_e32 v34, -1, v34
	v_mul_lo_u32 v36, 0xbc8f, v36
	v_cvt_f32_u32_e32 v34, v34
	v_fma_f32 v34, 0x30000000, v34, 0
	v_cmp_lt_u32_e32 vcc_lo, v36, v35
	v_mul_f32_e32 v34, v34, v34
	v_cndmask_b32_e32 v35, v38, v37, vcc_lo
	v_fma_f32 v37, 0x30000000, v33, 0
	v_add_nc_u32_e32 v35, v35, v36
	v_fmac_f32_e32 v34, v37, v37
	v_mul_hi_u32 v36, 0xbc8f1391, v35
	v_mul_f32_e32 v37, 0x4f800000, v34
	v_lshrrev_b32_e32 v33, 15, v36
	v_mul_u32_u24_e32 v36, 0xadc8, v33
	v_mul_u32_u24_e32 v33, 0xd47, v33
	v_sub_nc_u32_e32 v36, v35, v36
	v_xor_b32_e32 v38, 0x7fffffff, v33
	v_sub_nc_u32_e32 v39, 0, v33
	v_add_nc_u32_e32 v35, -1, v35
	v_mul_lo_u32 v36, 0xbc8f, v36
	v_cvt_f32_u32_e32 v35, v35
	v_fma_f32 v35, 0x30000000, v35, 0
	v_cmp_lt_u32_e32 vcc_lo, v36, v33
	v_cndmask_b32_e32 v33, v39, v38, vcc_lo
	v_cmp_gt_f32_e32 vcc_lo, 0xf800000, v34
	v_add_f32_e32 v38, 1.0, v4
	v_add_nc_u32_e32 v33, v33, v36
	v_cndmask_b32_e32 v34, v34, v37, vcc_lo
	v_add_nc_u32_e32 v36, -1, v33
	v_cvt_f32_u32_e32 v36, v36
	v_fma_f32 v36, 0x30000000, v36, 0
	v_mul_f32_e32 v36, v36, v36
	v_fmac_f32_e32 v36, v35, v35
	v_sqrt_f32_e32 v35, v34
	v_mul_f32_e32 v37, 0x4f800000, v36
	v_cmp_gt_f32_e64 s2, 0xf800000, v36
	v_cndmask_b32_e64 v36, v36, v37, s2
	v_add_nc_u32_e32 v37, -1, v35
	v_add_nc_u32_e32 v39, 1, v35
	v_sqrt_f32_e32 v40, v36
	v_fma_f32 v41, -v37, v35, v34
	v_fma_f32 v42, -v39, v35, v34
	v_cmp_ge_f32_e64 s3, 0, v41
	v_cndmask_b32_e64 v35, v35, v37, s3
	v_cmp_lt_f32_e64 s3, 0, v42
	v_add_nc_u32_e32 v37, -1, v40
	v_cndmask_b32_e64 v35, v35, v39, s3
	v_add_nc_u32_e32 v39, 1, v40
	v_fma_f32 v41, -v37, v40, v36
	v_mul_f32_e32 v42, 0x37800000, v35
	v_fma_f32 v43, -v39, v40, v36
	v_cmp_ge_f32_e64 s3, 0, v41
	v_cndmask_b32_e32 v35, v35, v42, vcc_lo
	v_cmp_class_f32_e64 vcc_lo, v34, 0x260
	v_cndmask_b32_e64 v37, v40, v37, s3
	v_cmp_lt_f32_e64 s3, 0, v43
	v_cndmask_b32_e32 v34, v35, v34, vcc_lo
	v_cndmask_b32_e64 v37, v37, v39, s3
	v_cmp_nge_f32_e32 vcc_lo, 1.0, v34
	v_mul_f32_e32 v35, 0x37800000, v37
	v_cndmask_b32_e32 v4, v38, v4, vcc_lo
	v_cmp_class_f32_e64 vcc_lo, v36, 0x260
	v_cndmask_b32_e64 v34, v37, v35, s2
	v_add_f32_e32 v35, 1.0, v4
	v_cndmask_b32_e32 v34, v34, v36, vcc_lo
	v_cmp_nge_f32_e32 vcc_lo, 1.0, v34
	v_cndmask_b32_e32 v4, v35, v4, vcc_lo
	s_cbranch_scc1 .LBB35_130
; %bb.131:
	v_mul_f32_e32 v4, 4.0, v4
	v_div_scale_f32 v33, null, 0x461c4000, 0x461c4000, v4
	v_rcp_f32_e32 v34, v33
	v_fma_f32 v35, -v33, v34, 1.0
	v_fmac_f32_e32 v34, v35, v34
	v_div_scale_f32 v35, vcc_lo, v4, 0x461c4000, v4
	v_mul_f32_e32 v36, v35, v34
	v_fma_f32 v37, -v33, v36, v35
	v_fmac_f32_e32 v36, v37, v34
	v_fma_f32 v33, -v33, v36, v35
	v_div_fmas_f32 v33, v33, v34, v36
	v_div_fixup_f32 v4, v33, 0x461c4000, v4
.LBB35_132:
	s_or_b32 exec_lo, exec_lo, s8
	v_or_b32_e32 v33, 0x300, v0
	v_cmp_gt_u32_e64 s2, s45, v33
	s_and_saveexec_b32 s9, s2
	s_cbranch_execz .LBB35_136
; %bb.133:
	v_add_nc_u32_e32 v5, s37, v33
	s_movk_i32 s10, 0x2710
	v_lshlrev_b32_e32 v33, 12, v5
	v_add3_u32 v5, v5, v33, 0x7ed55d16
	v_lshrrev_b32_e32 v33, 19, v5
	v_xor3_b32 v5, v5, v33, 0xc761c23c
	v_lshl_add_u32 v5, v5, 5, v5
	v_add_nc_u32_e32 v33, 0xe9f8cc1d, v5
	v_lshl_add_u32 v5, v5, 9, 0xaccf6200
	v_xor_b32_e32 v5, v33, v5
	v_lshlrev_b32_e32 v33, 3, v5
	v_add3_u32 v5, v5, v33, 0xfd7046c5
	v_lshrrev_b32_e32 v33, 16, v5
	v_xor3_b32 v5, v5, v33, 0xb55a4f09
	v_mul_hi_u32 v33, v5, 3
	v_sub_nc_u32_e32 v34, v5, v33
	v_lshrrev_b32_e32 v34, 1, v34
	v_add_nc_u32_e32 v33, v34, v33
	v_lshrrev_b32_e32 v33, 30, v33
	v_mul_lo_u32 v33, 0x7fffffff, v33
	v_sub_nc_u32_e32 v5, v5, v33
	v_max_u32_e32 v33, 1, v5
	v_mov_b32_e32 v5, 0
.LBB35_134:                             ; =>This Inner Loop Header: Depth=1
	v_mul_hi_u32 v34, 0xbc8f1391, v33
	s_add_i32 s10, s10, -2
	s_cmp_lg_u32 s10, 0
	v_lshrrev_b32_e32 v34, 15, v34
	v_mul_u32_u24_e32 v35, 0xadc8, v34
	v_mul_u32_u24_e32 v34, 0xd47, v34
	v_sub_nc_u32_e32 v33, v33, v35
	v_xor_b32_e32 v35, 0x7fffffff, v34
	v_sub_nc_u32_e32 v36, 0, v34
	v_mul_lo_u32 v33, 0xbc8f, v33
	v_cmp_lt_u32_e32 vcc_lo, v33, v34
	v_cndmask_b32_e32 v34, v36, v35, vcc_lo
	v_add_nc_u32_e32 v33, v34, v33
	v_mul_hi_u32 v34, 0xbc8f1391, v33
	v_lshrrev_b32_e32 v34, 15, v34
	v_mul_u32_u24_e32 v35, 0xadc8, v34
	v_mul_u32_u24_e32 v34, 0xd47, v34
	v_sub_nc_u32_e32 v35, v33, v35
	v_xor_b32_e32 v36, 0x7fffffff, v34
	v_sub_nc_u32_e32 v37, 0, v34
	v_add_nc_u32_e32 v33, -1, v33
	v_mul_lo_u32 v35, 0xbc8f, v35
	v_cvt_f32_u32_e32 v33, v33
	v_cmp_lt_u32_e32 vcc_lo, v35, v34
	v_cndmask_b32_e32 v34, v37, v36, vcc_lo
	v_add_nc_u32_e32 v34, v34, v35
	v_mul_hi_u32 v35, 0xbc8f1391, v34
	v_lshrrev_b32_e32 v35, 15, v35
	v_mul_u32_u24_e32 v36, 0xadc8, v35
	v_mul_u32_u24_e32 v35, 0xd47, v35
	v_sub_nc_u32_e32 v36, v34, v36
	v_xor_b32_e32 v37, 0x7fffffff, v35
	v_sub_nc_u32_e32 v38, 0, v35
	v_add_nc_u32_e32 v34, -1, v34
	v_mul_lo_u32 v36, 0xbc8f, v36
	v_cvt_f32_u32_e32 v34, v34
	v_fma_f32 v34, 0x30000000, v34, 0
	v_cmp_lt_u32_e32 vcc_lo, v36, v35
	v_mul_f32_e32 v34, v34, v34
	v_cndmask_b32_e32 v35, v38, v37, vcc_lo
	v_fma_f32 v37, 0x30000000, v33, 0
	v_add_nc_u32_e32 v35, v35, v36
	v_fmac_f32_e32 v34, v37, v37
	v_mul_hi_u32 v36, 0xbc8f1391, v35
	v_mul_f32_e32 v37, 0x4f800000, v34
	v_lshrrev_b32_e32 v33, 15, v36
	v_mul_u32_u24_e32 v36, 0xadc8, v33
	v_mul_u32_u24_e32 v33, 0xd47, v33
	v_sub_nc_u32_e32 v36, v35, v36
	v_xor_b32_e32 v38, 0x7fffffff, v33
	v_sub_nc_u32_e32 v39, 0, v33
	v_add_nc_u32_e32 v35, -1, v35
	v_mul_lo_u32 v36, 0xbc8f, v36
	v_cvt_f32_u32_e32 v35, v35
	v_fma_f32 v35, 0x30000000, v35, 0
	v_cmp_lt_u32_e32 vcc_lo, v36, v33
	v_cndmask_b32_e32 v33, v39, v38, vcc_lo
	v_cmp_gt_f32_e32 vcc_lo, 0xf800000, v34
	v_add_f32_e32 v38, 1.0, v5
	v_add_nc_u32_e32 v33, v33, v36
	v_cndmask_b32_e32 v34, v34, v37, vcc_lo
	v_add_nc_u32_e32 v36, -1, v33
	v_cvt_f32_u32_e32 v36, v36
	v_fma_f32 v36, 0x30000000, v36, 0
	v_mul_f32_e32 v36, v36, v36
	v_fmac_f32_e32 v36, v35, v35
	v_sqrt_f32_e32 v35, v34
	v_mul_f32_e32 v37, 0x4f800000, v36
	v_cmp_gt_f32_e64 s3, 0xf800000, v36
	v_cndmask_b32_e64 v36, v36, v37, s3
	v_add_nc_u32_e32 v37, -1, v35
	v_add_nc_u32_e32 v39, 1, v35
	v_sqrt_f32_e32 v40, v36
	v_fma_f32 v41, -v37, v35, v34
	v_fma_f32 v42, -v39, v35, v34
	v_cmp_ge_f32_e64 s8, 0, v41
	v_cndmask_b32_e64 v35, v35, v37, s8
	v_cmp_lt_f32_e64 s8, 0, v42
	v_add_nc_u32_e32 v37, -1, v40
	v_cndmask_b32_e64 v35, v35, v39, s8
	v_add_nc_u32_e32 v39, 1, v40
	v_fma_f32 v41, -v37, v40, v36
	v_mul_f32_e32 v42, 0x37800000, v35
	v_fma_f32 v43, -v39, v40, v36
	v_cmp_ge_f32_e64 s8, 0, v41
	v_cndmask_b32_e32 v35, v35, v42, vcc_lo
	v_cmp_class_f32_e64 vcc_lo, v34, 0x260
	v_cndmask_b32_e64 v37, v40, v37, s8
	v_cmp_lt_f32_e64 s8, 0, v43
	v_cndmask_b32_e32 v34, v35, v34, vcc_lo
	v_cndmask_b32_e64 v37, v37, v39, s8
	v_cmp_nge_f32_e32 vcc_lo, 1.0, v34
	v_mul_f32_e32 v35, 0x37800000, v37
	v_cndmask_b32_e32 v5, v38, v5, vcc_lo
	v_cmp_class_f32_e64 vcc_lo, v36, 0x260
	v_cndmask_b32_e64 v34, v37, v35, s3
	v_add_f32_e32 v35, 1.0, v5
	v_cndmask_b32_e32 v34, v34, v36, vcc_lo
	v_cmp_nge_f32_e32 vcc_lo, 1.0, v34
	v_cndmask_b32_e32 v5, v35, v5, vcc_lo
	s_cbranch_scc1 .LBB35_134
; %bb.135:
	v_mul_f32_e32 v5, 4.0, v5
	v_div_scale_f32 v33, null, 0x461c4000, 0x461c4000, v5
	v_rcp_f32_e32 v34, v33
	v_fma_f32 v35, -v33, v34, 1.0
	v_fmac_f32_e32 v34, v35, v34
	v_div_scale_f32 v35, vcc_lo, v5, 0x461c4000, v5
	v_mul_f32_e32 v36, v35, v34
	v_fma_f32 v37, -v33, v36, v35
	v_fmac_f32_e32 v36, v37, v34
	v_fma_f32 v33, -v33, v36, v35
	v_div_fmas_f32 v33, v33, v34, v36
	v_div_fixup_f32 v5, v33, 0x461c4000, v5
.LBB35_136:
	s_or_b32 exec_lo, exec_lo, s9
	v_or_b32_e32 v33, 0x400, v0
	v_cmp_gt_u32_e64 s3, s45, v33
	s_and_saveexec_b32 s10, s3
	s_cbranch_execz .LBB35_140
; %bb.137:
	v_add_nc_u32_e32 v6, s37, v33
	s_movk_i32 s11, 0x2710
	v_lshlrev_b32_e32 v33, 12, v6
	v_add3_u32 v6, v6, v33, 0x7ed55d16
	v_lshrrev_b32_e32 v33, 19, v6
	v_xor3_b32 v6, v6, v33, 0xc761c23c
	v_lshl_add_u32 v6, v6, 5, v6
	v_add_nc_u32_e32 v33, 0xe9f8cc1d, v6
	v_lshl_add_u32 v6, v6, 9, 0xaccf6200
	v_xor_b32_e32 v6, v33, v6
	v_lshlrev_b32_e32 v33, 3, v6
	v_add3_u32 v6, v6, v33, 0xfd7046c5
	v_lshrrev_b32_e32 v33, 16, v6
	v_xor3_b32 v6, v6, v33, 0xb55a4f09
	v_mul_hi_u32 v33, v6, 3
	v_sub_nc_u32_e32 v34, v6, v33
	v_lshrrev_b32_e32 v34, 1, v34
	v_add_nc_u32_e32 v33, v34, v33
	v_lshrrev_b32_e32 v33, 30, v33
	v_mul_lo_u32 v33, 0x7fffffff, v33
	v_sub_nc_u32_e32 v6, v6, v33
	v_max_u32_e32 v33, 1, v6
	v_mov_b32_e32 v6, 0
.LBB35_138:                             ; =>This Inner Loop Header: Depth=1
	v_mul_hi_u32 v34, 0xbc8f1391, v33
	s_add_i32 s11, s11, -2
	s_cmp_lg_u32 s11, 0
	v_lshrrev_b32_e32 v34, 15, v34
	v_mul_u32_u24_e32 v35, 0xadc8, v34
	v_mul_u32_u24_e32 v34, 0xd47, v34
	v_sub_nc_u32_e32 v33, v33, v35
	v_xor_b32_e32 v35, 0x7fffffff, v34
	v_sub_nc_u32_e32 v36, 0, v34
	v_mul_lo_u32 v33, 0xbc8f, v33
	v_cmp_lt_u32_e32 vcc_lo, v33, v34
	v_cndmask_b32_e32 v34, v36, v35, vcc_lo
	v_add_nc_u32_e32 v33, v34, v33
	v_mul_hi_u32 v34, 0xbc8f1391, v33
	v_lshrrev_b32_e32 v34, 15, v34
	v_mul_u32_u24_e32 v35, 0xadc8, v34
	v_mul_u32_u24_e32 v34, 0xd47, v34
	v_sub_nc_u32_e32 v35, v33, v35
	v_xor_b32_e32 v36, 0x7fffffff, v34
	v_sub_nc_u32_e32 v37, 0, v34
	v_add_nc_u32_e32 v33, -1, v33
	v_mul_lo_u32 v35, 0xbc8f, v35
	v_cvt_f32_u32_e32 v33, v33
	v_cmp_lt_u32_e32 vcc_lo, v35, v34
	v_cndmask_b32_e32 v34, v37, v36, vcc_lo
	v_add_nc_u32_e32 v34, v34, v35
	v_mul_hi_u32 v35, 0xbc8f1391, v34
	v_lshrrev_b32_e32 v35, 15, v35
	v_mul_u32_u24_e32 v36, 0xadc8, v35
	v_mul_u32_u24_e32 v35, 0xd47, v35
	v_sub_nc_u32_e32 v36, v34, v36
	v_xor_b32_e32 v37, 0x7fffffff, v35
	v_sub_nc_u32_e32 v38, 0, v35
	v_add_nc_u32_e32 v34, -1, v34
	v_mul_lo_u32 v36, 0xbc8f, v36
	v_cvt_f32_u32_e32 v34, v34
	v_fma_f32 v34, 0x30000000, v34, 0
	v_cmp_lt_u32_e32 vcc_lo, v36, v35
	v_mul_f32_e32 v34, v34, v34
	v_cndmask_b32_e32 v35, v38, v37, vcc_lo
	v_fma_f32 v37, 0x30000000, v33, 0
	v_add_nc_u32_e32 v35, v35, v36
	v_fmac_f32_e32 v34, v37, v37
	v_mul_hi_u32 v36, 0xbc8f1391, v35
	v_mul_f32_e32 v37, 0x4f800000, v34
	v_lshrrev_b32_e32 v33, 15, v36
	v_mul_u32_u24_e32 v36, 0xadc8, v33
	v_mul_u32_u24_e32 v33, 0xd47, v33
	v_sub_nc_u32_e32 v36, v35, v36
	v_xor_b32_e32 v38, 0x7fffffff, v33
	v_sub_nc_u32_e32 v39, 0, v33
	v_add_nc_u32_e32 v35, -1, v35
	v_mul_lo_u32 v36, 0xbc8f, v36
	v_cvt_f32_u32_e32 v35, v35
	v_fma_f32 v35, 0x30000000, v35, 0
	v_cmp_lt_u32_e32 vcc_lo, v36, v33
	v_cndmask_b32_e32 v33, v39, v38, vcc_lo
	v_cmp_gt_f32_e32 vcc_lo, 0xf800000, v34
	v_add_f32_e32 v38, 1.0, v6
	v_add_nc_u32_e32 v33, v33, v36
	v_cndmask_b32_e32 v34, v34, v37, vcc_lo
	v_add_nc_u32_e32 v36, -1, v33
	v_cvt_f32_u32_e32 v36, v36
	v_fma_f32 v36, 0x30000000, v36, 0
	v_mul_f32_e32 v36, v36, v36
	v_fmac_f32_e32 v36, v35, v35
	v_sqrt_f32_e32 v35, v34
	v_mul_f32_e32 v37, 0x4f800000, v36
	v_cmp_gt_f32_e64 s8, 0xf800000, v36
	v_cndmask_b32_e64 v36, v36, v37, s8
	v_add_nc_u32_e32 v37, -1, v35
	v_add_nc_u32_e32 v39, 1, v35
	v_sqrt_f32_e32 v40, v36
	v_fma_f32 v41, -v37, v35, v34
	v_fma_f32 v42, -v39, v35, v34
	v_cmp_ge_f32_e64 s9, 0, v41
	v_cndmask_b32_e64 v35, v35, v37, s9
	v_cmp_lt_f32_e64 s9, 0, v42
	v_add_nc_u32_e32 v37, -1, v40
	v_cndmask_b32_e64 v35, v35, v39, s9
	v_add_nc_u32_e32 v39, 1, v40
	v_fma_f32 v41, -v37, v40, v36
	v_mul_f32_e32 v42, 0x37800000, v35
	v_fma_f32 v43, -v39, v40, v36
	v_cmp_ge_f32_e64 s9, 0, v41
	v_cndmask_b32_e32 v35, v35, v42, vcc_lo
	v_cmp_class_f32_e64 vcc_lo, v34, 0x260
	v_cndmask_b32_e64 v37, v40, v37, s9
	v_cmp_lt_f32_e64 s9, 0, v43
	v_cndmask_b32_e32 v34, v35, v34, vcc_lo
	v_cndmask_b32_e64 v37, v37, v39, s9
	v_cmp_nge_f32_e32 vcc_lo, 1.0, v34
	v_mul_f32_e32 v35, 0x37800000, v37
	v_cndmask_b32_e32 v6, v38, v6, vcc_lo
	v_cmp_class_f32_e64 vcc_lo, v36, 0x260
	v_cndmask_b32_e64 v34, v37, v35, s8
	v_add_f32_e32 v35, 1.0, v6
	v_cndmask_b32_e32 v34, v34, v36, vcc_lo
	v_cmp_nge_f32_e32 vcc_lo, 1.0, v34
	v_cndmask_b32_e32 v6, v35, v6, vcc_lo
	s_cbranch_scc1 .LBB35_138
; %bb.139:
	v_mul_f32_e32 v6, 4.0, v6
	v_div_scale_f32 v33, null, 0x461c4000, 0x461c4000, v6
	v_rcp_f32_e32 v34, v33
	v_fma_f32 v35, -v33, v34, 1.0
	v_fmac_f32_e32 v34, v35, v34
	v_div_scale_f32 v35, vcc_lo, v6, 0x461c4000, v6
	v_mul_f32_e32 v36, v35, v34
	v_fma_f32 v37, -v33, v36, v35
	v_fmac_f32_e32 v36, v37, v34
	v_fma_f32 v33, -v33, v36, v35
	v_div_fmas_f32 v33, v33, v34, v36
	v_div_fixup_f32 v6, v33, 0x461c4000, v6
.LBB35_140:
	s_or_b32 exec_lo, exec_lo, s10
	v_or_b32_e32 v33, 0x500, v0
	v_cmp_gt_u32_e64 s8, s45, v33
	s_and_saveexec_b32 s11, s8
	s_cbranch_execz .LBB35_144
; %bb.141:
	v_add_nc_u32_e32 v7, s37, v33
	s_movk_i32 s12, 0x2710
	v_lshlrev_b32_e32 v33, 12, v7
	v_add3_u32 v7, v7, v33, 0x7ed55d16
	v_lshrrev_b32_e32 v33, 19, v7
	v_xor3_b32 v7, v7, v33, 0xc761c23c
	v_lshl_add_u32 v7, v7, 5, v7
	v_add_nc_u32_e32 v33, 0xe9f8cc1d, v7
	v_lshl_add_u32 v7, v7, 9, 0xaccf6200
	v_xor_b32_e32 v7, v33, v7
	v_lshlrev_b32_e32 v33, 3, v7
	v_add3_u32 v7, v7, v33, 0xfd7046c5
	v_lshrrev_b32_e32 v33, 16, v7
	v_xor3_b32 v7, v7, v33, 0xb55a4f09
	v_mul_hi_u32 v33, v7, 3
	v_sub_nc_u32_e32 v34, v7, v33
	v_lshrrev_b32_e32 v34, 1, v34
	v_add_nc_u32_e32 v33, v34, v33
	v_lshrrev_b32_e32 v33, 30, v33
	v_mul_lo_u32 v33, 0x7fffffff, v33
	v_sub_nc_u32_e32 v7, v7, v33
	v_max_u32_e32 v33, 1, v7
	v_mov_b32_e32 v7, 0
.LBB35_142:                             ; =>This Inner Loop Header: Depth=1
	v_mul_hi_u32 v34, 0xbc8f1391, v33
	s_add_i32 s12, s12, -2
	s_cmp_lg_u32 s12, 0
	v_lshrrev_b32_e32 v34, 15, v34
	v_mul_u32_u24_e32 v35, 0xadc8, v34
	v_mul_u32_u24_e32 v34, 0xd47, v34
	v_sub_nc_u32_e32 v33, v33, v35
	v_xor_b32_e32 v35, 0x7fffffff, v34
	v_sub_nc_u32_e32 v36, 0, v34
	v_mul_lo_u32 v33, 0xbc8f, v33
	v_cmp_lt_u32_e32 vcc_lo, v33, v34
	v_cndmask_b32_e32 v34, v36, v35, vcc_lo
	v_add_nc_u32_e32 v33, v34, v33
	v_mul_hi_u32 v34, 0xbc8f1391, v33
	v_lshrrev_b32_e32 v34, 15, v34
	v_mul_u32_u24_e32 v35, 0xadc8, v34
	v_mul_u32_u24_e32 v34, 0xd47, v34
	v_sub_nc_u32_e32 v35, v33, v35
	v_xor_b32_e32 v36, 0x7fffffff, v34
	v_sub_nc_u32_e32 v37, 0, v34
	v_add_nc_u32_e32 v33, -1, v33
	v_mul_lo_u32 v35, 0xbc8f, v35
	v_cvt_f32_u32_e32 v33, v33
	v_cmp_lt_u32_e32 vcc_lo, v35, v34
	v_cndmask_b32_e32 v34, v37, v36, vcc_lo
	v_add_nc_u32_e32 v34, v34, v35
	v_mul_hi_u32 v35, 0xbc8f1391, v34
	v_lshrrev_b32_e32 v35, 15, v35
	v_mul_u32_u24_e32 v36, 0xadc8, v35
	v_mul_u32_u24_e32 v35, 0xd47, v35
	v_sub_nc_u32_e32 v36, v34, v36
	v_xor_b32_e32 v37, 0x7fffffff, v35
	v_sub_nc_u32_e32 v38, 0, v35
	v_add_nc_u32_e32 v34, -1, v34
	v_mul_lo_u32 v36, 0xbc8f, v36
	v_cvt_f32_u32_e32 v34, v34
	v_fma_f32 v34, 0x30000000, v34, 0
	v_cmp_lt_u32_e32 vcc_lo, v36, v35
	v_mul_f32_e32 v34, v34, v34
	v_cndmask_b32_e32 v35, v38, v37, vcc_lo
	v_fma_f32 v37, 0x30000000, v33, 0
	v_add_nc_u32_e32 v35, v35, v36
	v_fmac_f32_e32 v34, v37, v37
	v_mul_hi_u32 v36, 0xbc8f1391, v35
	v_mul_f32_e32 v37, 0x4f800000, v34
	v_lshrrev_b32_e32 v33, 15, v36
	v_mul_u32_u24_e32 v36, 0xadc8, v33
	v_mul_u32_u24_e32 v33, 0xd47, v33
	v_sub_nc_u32_e32 v36, v35, v36
	v_xor_b32_e32 v38, 0x7fffffff, v33
	v_sub_nc_u32_e32 v39, 0, v33
	v_add_nc_u32_e32 v35, -1, v35
	v_mul_lo_u32 v36, 0xbc8f, v36
	v_cvt_f32_u32_e32 v35, v35
	v_fma_f32 v35, 0x30000000, v35, 0
	v_cmp_lt_u32_e32 vcc_lo, v36, v33
	v_cndmask_b32_e32 v33, v39, v38, vcc_lo
	v_cmp_gt_f32_e32 vcc_lo, 0xf800000, v34
	v_add_f32_e32 v38, 1.0, v7
	v_add_nc_u32_e32 v33, v33, v36
	v_cndmask_b32_e32 v34, v34, v37, vcc_lo
	v_add_nc_u32_e32 v36, -1, v33
	v_cvt_f32_u32_e32 v36, v36
	v_fma_f32 v36, 0x30000000, v36, 0
	v_mul_f32_e32 v36, v36, v36
	v_fmac_f32_e32 v36, v35, v35
	v_sqrt_f32_e32 v35, v34
	v_mul_f32_e32 v37, 0x4f800000, v36
	v_cmp_gt_f32_e64 s9, 0xf800000, v36
	v_cndmask_b32_e64 v36, v36, v37, s9
	v_add_nc_u32_e32 v37, -1, v35
	v_add_nc_u32_e32 v39, 1, v35
	v_sqrt_f32_e32 v40, v36
	v_fma_f32 v41, -v37, v35, v34
	v_fma_f32 v42, -v39, v35, v34
	v_cmp_ge_f32_e64 s10, 0, v41
	v_cndmask_b32_e64 v35, v35, v37, s10
	v_cmp_lt_f32_e64 s10, 0, v42
	v_add_nc_u32_e32 v37, -1, v40
	v_cndmask_b32_e64 v35, v35, v39, s10
	v_add_nc_u32_e32 v39, 1, v40
	v_fma_f32 v41, -v37, v40, v36
	v_mul_f32_e32 v42, 0x37800000, v35
	v_fma_f32 v43, -v39, v40, v36
	v_cmp_ge_f32_e64 s10, 0, v41
	v_cndmask_b32_e32 v35, v35, v42, vcc_lo
	v_cmp_class_f32_e64 vcc_lo, v34, 0x260
	v_cndmask_b32_e64 v37, v40, v37, s10
	v_cmp_lt_f32_e64 s10, 0, v43
	v_cndmask_b32_e32 v34, v35, v34, vcc_lo
	v_cndmask_b32_e64 v37, v37, v39, s10
	v_cmp_nge_f32_e32 vcc_lo, 1.0, v34
	v_mul_f32_e32 v35, 0x37800000, v37
	v_cndmask_b32_e32 v7, v38, v7, vcc_lo
	v_cmp_class_f32_e64 vcc_lo, v36, 0x260
	v_cndmask_b32_e64 v34, v37, v35, s9
	v_add_f32_e32 v35, 1.0, v7
	v_cndmask_b32_e32 v34, v34, v36, vcc_lo
	v_cmp_nge_f32_e32 vcc_lo, 1.0, v34
	v_cndmask_b32_e32 v7, v35, v7, vcc_lo
	s_cbranch_scc1 .LBB35_142
; %bb.143:
	v_mul_f32_e32 v7, 4.0, v7
	v_div_scale_f32 v33, null, 0x461c4000, 0x461c4000, v7
	v_rcp_f32_e32 v34, v33
	v_fma_f32 v35, -v33, v34, 1.0
	v_fmac_f32_e32 v34, v35, v34
	v_div_scale_f32 v35, vcc_lo, v7, 0x461c4000, v7
	v_mul_f32_e32 v36, v35, v34
	v_fma_f32 v37, -v33, v36, v35
	v_fmac_f32_e32 v36, v37, v34
	v_fma_f32 v33, -v33, v36, v35
	v_div_fmas_f32 v33, v33, v34, v36
	v_div_fixup_f32 v7, v33, 0x461c4000, v7
.LBB35_144:
	s_or_b32 exec_lo, exec_lo, s11
	v_or_b32_e32 v33, 0x600, v0
	v_cmp_gt_u32_e64 s9, s45, v33
	s_and_saveexec_b32 s12, s9
	s_cbranch_execz .LBB35_148
; %bb.145:
	v_add_nc_u32_e32 v8, s37, v33
	s_movk_i32 s13, 0x2710
	v_lshlrev_b32_e32 v33, 12, v8
	v_add3_u32 v8, v8, v33, 0x7ed55d16
	v_lshrrev_b32_e32 v33, 19, v8
	v_xor3_b32 v8, v8, v33, 0xc761c23c
	v_lshl_add_u32 v8, v8, 5, v8
	v_add_nc_u32_e32 v33, 0xe9f8cc1d, v8
	v_lshl_add_u32 v8, v8, 9, 0xaccf6200
	v_xor_b32_e32 v8, v33, v8
	v_lshlrev_b32_e32 v33, 3, v8
	v_add3_u32 v8, v8, v33, 0xfd7046c5
	v_lshrrev_b32_e32 v33, 16, v8
	v_xor3_b32 v8, v8, v33, 0xb55a4f09
	v_mul_hi_u32 v33, v8, 3
	v_sub_nc_u32_e32 v34, v8, v33
	v_lshrrev_b32_e32 v34, 1, v34
	v_add_nc_u32_e32 v33, v34, v33
	v_lshrrev_b32_e32 v33, 30, v33
	v_mul_lo_u32 v33, 0x7fffffff, v33
	v_sub_nc_u32_e32 v8, v8, v33
	v_max_u32_e32 v33, 1, v8
	v_mov_b32_e32 v8, 0
.LBB35_146:                             ; =>This Inner Loop Header: Depth=1
	v_mul_hi_u32 v34, 0xbc8f1391, v33
	s_add_i32 s13, s13, -2
	s_cmp_lg_u32 s13, 0
	v_lshrrev_b32_e32 v34, 15, v34
	v_mul_u32_u24_e32 v35, 0xadc8, v34
	v_mul_u32_u24_e32 v34, 0xd47, v34
	v_sub_nc_u32_e32 v33, v33, v35
	v_xor_b32_e32 v35, 0x7fffffff, v34
	v_sub_nc_u32_e32 v36, 0, v34
	v_mul_lo_u32 v33, 0xbc8f, v33
	v_cmp_lt_u32_e32 vcc_lo, v33, v34
	v_cndmask_b32_e32 v34, v36, v35, vcc_lo
	v_add_nc_u32_e32 v33, v34, v33
	v_mul_hi_u32 v34, 0xbc8f1391, v33
	v_lshrrev_b32_e32 v34, 15, v34
	v_mul_u32_u24_e32 v35, 0xadc8, v34
	v_mul_u32_u24_e32 v34, 0xd47, v34
	v_sub_nc_u32_e32 v35, v33, v35
	v_xor_b32_e32 v36, 0x7fffffff, v34
	v_sub_nc_u32_e32 v37, 0, v34
	v_add_nc_u32_e32 v33, -1, v33
	v_mul_lo_u32 v35, 0xbc8f, v35
	v_cvt_f32_u32_e32 v33, v33
	v_cmp_lt_u32_e32 vcc_lo, v35, v34
	v_cndmask_b32_e32 v34, v37, v36, vcc_lo
	v_add_nc_u32_e32 v34, v34, v35
	v_mul_hi_u32 v35, 0xbc8f1391, v34
	v_lshrrev_b32_e32 v35, 15, v35
	v_mul_u32_u24_e32 v36, 0xadc8, v35
	v_mul_u32_u24_e32 v35, 0xd47, v35
	v_sub_nc_u32_e32 v36, v34, v36
	v_xor_b32_e32 v37, 0x7fffffff, v35
	v_sub_nc_u32_e32 v38, 0, v35
	v_add_nc_u32_e32 v34, -1, v34
	v_mul_lo_u32 v36, 0xbc8f, v36
	v_cvt_f32_u32_e32 v34, v34
	v_fma_f32 v34, 0x30000000, v34, 0
	v_cmp_lt_u32_e32 vcc_lo, v36, v35
	v_mul_f32_e32 v34, v34, v34
	v_cndmask_b32_e32 v35, v38, v37, vcc_lo
	v_fma_f32 v37, 0x30000000, v33, 0
	v_add_nc_u32_e32 v35, v35, v36
	v_fmac_f32_e32 v34, v37, v37
	v_mul_hi_u32 v36, 0xbc8f1391, v35
	v_mul_f32_e32 v37, 0x4f800000, v34
	v_lshrrev_b32_e32 v33, 15, v36
	v_mul_u32_u24_e32 v36, 0xadc8, v33
	v_mul_u32_u24_e32 v33, 0xd47, v33
	v_sub_nc_u32_e32 v36, v35, v36
	v_xor_b32_e32 v38, 0x7fffffff, v33
	v_sub_nc_u32_e32 v39, 0, v33
	v_add_nc_u32_e32 v35, -1, v35
	v_mul_lo_u32 v36, 0xbc8f, v36
	v_cvt_f32_u32_e32 v35, v35
	v_fma_f32 v35, 0x30000000, v35, 0
	v_cmp_lt_u32_e32 vcc_lo, v36, v33
	v_cndmask_b32_e32 v33, v39, v38, vcc_lo
	v_cmp_gt_f32_e32 vcc_lo, 0xf800000, v34
	v_add_f32_e32 v38, 1.0, v8
	v_add_nc_u32_e32 v33, v33, v36
	v_cndmask_b32_e32 v34, v34, v37, vcc_lo
	v_add_nc_u32_e32 v36, -1, v33
	v_cvt_f32_u32_e32 v36, v36
	v_fma_f32 v36, 0x30000000, v36, 0
	v_mul_f32_e32 v36, v36, v36
	v_fmac_f32_e32 v36, v35, v35
	v_sqrt_f32_e32 v35, v34
	v_mul_f32_e32 v37, 0x4f800000, v36
	v_cmp_gt_f32_e64 s10, 0xf800000, v36
	v_cndmask_b32_e64 v36, v36, v37, s10
	v_add_nc_u32_e32 v37, -1, v35
	v_add_nc_u32_e32 v39, 1, v35
	v_sqrt_f32_e32 v40, v36
	v_fma_f32 v41, -v37, v35, v34
	v_fma_f32 v42, -v39, v35, v34
	v_cmp_ge_f32_e64 s11, 0, v41
	v_cndmask_b32_e64 v35, v35, v37, s11
	v_cmp_lt_f32_e64 s11, 0, v42
	v_add_nc_u32_e32 v37, -1, v40
	v_cndmask_b32_e64 v35, v35, v39, s11
	v_add_nc_u32_e32 v39, 1, v40
	v_fma_f32 v41, -v37, v40, v36
	v_mul_f32_e32 v42, 0x37800000, v35
	v_fma_f32 v43, -v39, v40, v36
	v_cmp_ge_f32_e64 s11, 0, v41
	v_cndmask_b32_e32 v35, v35, v42, vcc_lo
	v_cmp_class_f32_e64 vcc_lo, v34, 0x260
	v_cndmask_b32_e64 v37, v40, v37, s11
	v_cmp_lt_f32_e64 s11, 0, v43
	v_cndmask_b32_e32 v34, v35, v34, vcc_lo
	v_cndmask_b32_e64 v37, v37, v39, s11
	v_cmp_nge_f32_e32 vcc_lo, 1.0, v34
	v_mul_f32_e32 v35, 0x37800000, v37
	v_cndmask_b32_e32 v8, v38, v8, vcc_lo
	v_cmp_class_f32_e64 vcc_lo, v36, 0x260
	v_cndmask_b32_e64 v34, v37, v35, s10
	v_add_f32_e32 v35, 1.0, v8
	v_cndmask_b32_e32 v34, v34, v36, vcc_lo
	v_cmp_nge_f32_e32 vcc_lo, 1.0, v34
	v_cndmask_b32_e32 v8, v35, v8, vcc_lo
	s_cbranch_scc1 .LBB35_146
; %bb.147:
	v_mul_f32_e32 v8, 4.0, v8
	v_div_scale_f32 v33, null, 0x461c4000, 0x461c4000, v8
	v_rcp_f32_e32 v34, v33
	v_fma_f32 v35, -v33, v34, 1.0
	v_fmac_f32_e32 v34, v35, v34
	v_div_scale_f32 v35, vcc_lo, v8, 0x461c4000, v8
	v_mul_f32_e32 v36, v35, v34
	v_fma_f32 v37, -v33, v36, v35
	v_fmac_f32_e32 v36, v37, v34
	v_fma_f32 v33, -v33, v36, v35
	v_div_fmas_f32 v33, v33, v34, v36
	v_div_fixup_f32 v8, v33, 0x461c4000, v8
.LBB35_148:
	s_or_b32 exec_lo, exec_lo, s12
	v_or_b32_e32 v33, 0x700, v0
	v_cmp_gt_u32_e64 s10, s45, v33
	s_and_saveexec_b32 s13, s10
	s_cbranch_execz .LBB35_152
; %bb.149:
	v_add_nc_u32_e32 v9, s37, v33
	s_movk_i32 s14, 0x2710
	v_lshlrev_b32_e32 v33, 12, v9
	v_add3_u32 v9, v9, v33, 0x7ed55d16
	v_lshrrev_b32_e32 v33, 19, v9
	v_xor3_b32 v9, v9, v33, 0xc761c23c
	v_lshl_add_u32 v9, v9, 5, v9
	v_add_nc_u32_e32 v33, 0xe9f8cc1d, v9
	v_lshl_add_u32 v9, v9, 9, 0xaccf6200
	v_xor_b32_e32 v9, v33, v9
	v_lshlrev_b32_e32 v33, 3, v9
	v_add3_u32 v9, v9, v33, 0xfd7046c5
	v_lshrrev_b32_e32 v33, 16, v9
	v_xor3_b32 v9, v9, v33, 0xb55a4f09
	v_mul_hi_u32 v33, v9, 3
	v_sub_nc_u32_e32 v34, v9, v33
	v_lshrrev_b32_e32 v34, 1, v34
	v_add_nc_u32_e32 v33, v34, v33
	v_lshrrev_b32_e32 v33, 30, v33
	v_mul_lo_u32 v33, 0x7fffffff, v33
	v_sub_nc_u32_e32 v9, v9, v33
	v_max_u32_e32 v33, 1, v9
	v_mov_b32_e32 v9, 0
.LBB35_150:                             ; =>This Inner Loop Header: Depth=1
	v_mul_hi_u32 v34, 0xbc8f1391, v33
	s_add_i32 s14, s14, -2
	s_cmp_lg_u32 s14, 0
	v_lshrrev_b32_e32 v34, 15, v34
	v_mul_u32_u24_e32 v35, 0xadc8, v34
	v_mul_u32_u24_e32 v34, 0xd47, v34
	v_sub_nc_u32_e32 v33, v33, v35
	v_xor_b32_e32 v35, 0x7fffffff, v34
	v_sub_nc_u32_e32 v36, 0, v34
	v_mul_lo_u32 v33, 0xbc8f, v33
	v_cmp_lt_u32_e32 vcc_lo, v33, v34
	v_cndmask_b32_e32 v34, v36, v35, vcc_lo
	v_add_nc_u32_e32 v33, v34, v33
	v_mul_hi_u32 v34, 0xbc8f1391, v33
	v_lshrrev_b32_e32 v34, 15, v34
	v_mul_u32_u24_e32 v35, 0xadc8, v34
	v_mul_u32_u24_e32 v34, 0xd47, v34
	v_sub_nc_u32_e32 v35, v33, v35
	v_xor_b32_e32 v36, 0x7fffffff, v34
	v_sub_nc_u32_e32 v37, 0, v34
	v_add_nc_u32_e32 v33, -1, v33
	v_mul_lo_u32 v35, 0xbc8f, v35
	v_cvt_f32_u32_e32 v33, v33
	v_cmp_lt_u32_e32 vcc_lo, v35, v34
	v_cndmask_b32_e32 v34, v37, v36, vcc_lo
	v_add_nc_u32_e32 v34, v34, v35
	v_mul_hi_u32 v35, 0xbc8f1391, v34
	v_lshrrev_b32_e32 v35, 15, v35
	v_mul_u32_u24_e32 v36, 0xadc8, v35
	v_mul_u32_u24_e32 v35, 0xd47, v35
	v_sub_nc_u32_e32 v36, v34, v36
	v_xor_b32_e32 v37, 0x7fffffff, v35
	v_sub_nc_u32_e32 v38, 0, v35
	v_add_nc_u32_e32 v34, -1, v34
	v_mul_lo_u32 v36, 0xbc8f, v36
	v_cvt_f32_u32_e32 v34, v34
	v_fma_f32 v34, 0x30000000, v34, 0
	v_cmp_lt_u32_e32 vcc_lo, v36, v35
	v_mul_f32_e32 v34, v34, v34
	v_cndmask_b32_e32 v35, v38, v37, vcc_lo
	v_fma_f32 v37, 0x30000000, v33, 0
	v_add_nc_u32_e32 v35, v35, v36
	v_fmac_f32_e32 v34, v37, v37
	v_mul_hi_u32 v36, 0xbc8f1391, v35
	v_mul_f32_e32 v37, 0x4f800000, v34
	v_lshrrev_b32_e32 v33, 15, v36
	v_mul_u32_u24_e32 v36, 0xadc8, v33
	v_mul_u32_u24_e32 v33, 0xd47, v33
	v_sub_nc_u32_e32 v36, v35, v36
	v_xor_b32_e32 v38, 0x7fffffff, v33
	v_sub_nc_u32_e32 v39, 0, v33
	v_add_nc_u32_e32 v35, -1, v35
	v_mul_lo_u32 v36, 0xbc8f, v36
	v_cvt_f32_u32_e32 v35, v35
	v_fma_f32 v35, 0x30000000, v35, 0
	v_cmp_lt_u32_e32 vcc_lo, v36, v33
	v_cndmask_b32_e32 v33, v39, v38, vcc_lo
	v_cmp_gt_f32_e32 vcc_lo, 0xf800000, v34
	v_add_f32_e32 v38, 1.0, v9
	v_add_nc_u32_e32 v33, v33, v36
	v_cndmask_b32_e32 v34, v34, v37, vcc_lo
	v_add_nc_u32_e32 v36, -1, v33
	v_cvt_f32_u32_e32 v36, v36
	v_fma_f32 v36, 0x30000000, v36, 0
	v_mul_f32_e32 v36, v36, v36
	v_fmac_f32_e32 v36, v35, v35
	v_sqrt_f32_e32 v35, v34
	v_mul_f32_e32 v37, 0x4f800000, v36
	v_cmp_gt_f32_e64 s11, 0xf800000, v36
	v_cndmask_b32_e64 v36, v36, v37, s11
	v_add_nc_u32_e32 v37, -1, v35
	v_add_nc_u32_e32 v39, 1, v35
	v_sqrt_f32_e32 v40, v36
	v_fma_f32 v41, -v37, v35, v34
	v_fma_f32 v42, -v39, v35, v34
	v_cmp_ge_f32_e64 s12, 0, v41
	v_cndmask_b32_e64 v35, v35, v37, s12
	v_cmp_lt_f32_e64 s12, 0, v42
	v_add_nc_u32_e32 v37, -1, v40
	v_cndmask_b32_e64 v35, v35, v39, s12
	v_add_nc_u32_e32 v39, 1, v40
	v_fma_f32 v41, -v37, v40, v36
	v_mul_f32_e32 v42, 0x37800000, v35
	v_fma_f32 v43, -v39, v40, v36
	v_cmp_ge_f32_e64 s12, 0, v41
	v_cndmask_b32_e32 v35, v35, v42, vcc_lo
	v_cmp_class_f32_e64 vcc_lo, v34, 0x260
	v_cndmask_b32_e64 v37, v40, v37, s12
	v_cmp_lt_f32_e64 s12, 0, v43
	v_cndmask_b32_e32 v34, v35, v34, vcc_lo
	v_cndmask_b32_e64 v37, v37, v39, s12
	v_cmp_nge_f32_e32 vcc_lo, 1.0, v34
	v_mul_f32_e32 v35, 0x37800000, v37
	v_cndmask_b32_e32 v9, v38, v9, vcc_lo
	v_cmp_class_f32_e64 vcc_lo, v36, 0x260
	v_cndmask_b32_e64 v34, v37, v35, s11
	v_add_f32_e32 v35, 1.0, v9
	v_cndmask_b32_e32 v34, v34, v36, vcc_lo
	v_cmp_nge_f32_e32 vcc_lo, 1.0, v34
	v_cndmask_b32_e32 v9, v35, v9, vcc_lo
	s_cbranch_scc1 .LBB35_150
; %bb.151:
	v_mul_f32_e32 v9, 4.0, v9
	v_div_scale_f32 v33, null, 0x461c4000, 0x461c4000, v9
	v_rcp_f32_e32 v34, v33
	v_fma_f32 v35, -v33, v34, 1.0
	v_fmac_f32_e32 v34, v35, v34
	v_div_scale_f32 v35, vcc_lo, v9, 0x461c4000, v9
	v_mul_f32_e32 v36, v35, v34
	v_fma_f32 v37, -v33, v36, v35
	v_fmac_f32_e32 v36, v37, v34
	v_fma_f32 v33, -v33, v36, v35
	v_div_fmas_f32 v33, v33, v34, v36
	v_div_fixup_f32 v9, v33, 0x461c4000, v9
.LBB35_152:
	s_or_b32 exec_lo, exec_lo, s13
	v_or_b32_e32 v33, 0x800, v0
	v_cmp_gt_u32_e64 s11, s45, v33
	s_and_saveexec_b32 s14, s11
	s_cbranch_execz .LBB35_156
; %bb.153:
	v_add_nc_u32_e32 v10, s37, v33
	s_movk_i32 s15, 0x2710
	v_lshlrev_b32_e32 v33, 12, v10
	v_add3_u32 v10, v10, v33, 0x7ed55d16
	v_lshrrev_b32_e32 v33, 19, v10
	v_xor3_b32 v10, v10, v33, 0xc761c23c
	v_lshl_add_u32 v10, v10, 5, v10
	v_add_nc_u32_e32 v33, 0xe9f8cc1d, v10
	v_lshl_add_u32 v10, v10, 9, 0xaccf6200
	v_xor_b32_e32 v10, v33, v10
	v_lshlrev_b32_e32 v33, 3, v10
	v_add3_u32 v10, v10, v33, 0xfd7046c5
	v_lshrrev_b32_e32 v33, 16, v10
	v_xor3_b32 v10, v10, v33, 0xb55a4f09
	v_mul_hi_u32 v33, v10, 3
	v_sub_nc_u32_e32 v34, v10, v33
	v_lshrrev_b32_e32 v34, 1, v34
	v_add_nc_u32_e32 v33, v34, v33
	v_lshrrev_b32_e32 v33, 30, v33
	v_mul_lo_u32 v33, 0x7fffffff, v33
	v_sub_nc_u32_e32 v10, v10, v33
	v_max_u32_e32 v33, 1, v10
	v_mov_b32_e32 v10, 0
.LBB35_154:                             ; =>This Inner Loop Header: Depth=1
	v_mul_hi_u32 v34, 0xbc8f1391, v33
	s_add_i32 s15, s15, -2
	s_cmp_lg_u32 s15, 0
	v_lshrrev_b32_e32 v34, 15, v34
	v_mul_u32_u24_e32 v35, 0xadc8, v34
	v_mul_u32_u24_e32 v34, 0xd47, v34
	v_sub_nc_u32_e32 v33, v33, v35
	v_xor_b32_e32 v35, 0x7fffffff, v34
	v_sub_nc_u32_e32 v36, 0, v34
	v_mul_lo_u32 v33, 0xbc8f, v33
	v_cmp_lt_u32_e32 vcc_lo, v33, v34
	v_cndmask_b32_e32 v34, v36, v35, vcc_lo
	v_add_nc_u32_e32 v33, v34, v33
	v_mul_hi_u32 v34, 0xbc8f1391, v33
	v_lshrrev_b32_e32 v34, 15, v34
	v_mul_u32_u24_e32 v35, 0xadc8, v34
	v_mul_u32_u24_e32 v34, 0xd47, v34
	v_sub_nc_u32_e32 v35, v33, v35
	v_xor_b32_e32 v36, 0x7fffffff, v34
	v_sub_nc_u32_e32 v37, 0, v34
	v_add_nc_u32_e32 v33, -1, v33
	v_mul_lo_u32 v35, 0xbc8f, v35
	v_cvt_f32_u32_e32 v33, v33
	v_cmp_lt_u32_e32 vcc_lo, v35, v34
	v_cndmask_b32_e32 v34, v37, v36, vcc_lo
	v_add_nc_u32_e32 v34, v34, v35
	v_mul_hi_u32 v35, 0xbc8f1391, v34
	v_lshrrev_b32_e32 v35, 15, v35
	v_mul_u32_u24_e32 v36, 0xadc8, v35
	v_mul_u32_u24_e32 v35, 0xd47, v35
	v_sub_nc_u32_e32 v36, v34, v36
	v_xor_b32_e32 v37, 0x7fffffff, v35
	v_sub_nc_u32_e32 v38, 0, v35
	v_add_nc_u32_e32 v34, -1, v34
	v_mul_lo_u32 v36, 0xbc8f, v36
	v_cvt_f32_u32_e32 v34, v34
	v_fma_f32 v34, 0x30000000, v34, 0
	v_cmp_lt_u32_e32 vcc_lo, v36, v35
	v_mul_f32_e32 v34, v34, v34
	v_cndmask_b32_e32 v35, v38, v37, vcc_lo
	v_fma_f32 v37, 0x30000000, v33, 0
	v_add_nc_u32_e32 v35, v35, v36
	v_fmac_f32_e32 v34, v37, v37
	v_mul_hi_u32 v36, 0xbc8f1391, v35
	v_mul_f32_e32 v37, 0x4f800000, v34
	v_lshrrev_b32_e32 v33, 15, v36
	v_mul_u32_u24_e32 v36, 0xadc8, v33
	v_mul_u32_u24_e32 v33, 0xd47, v33
	v_sub_nc_u32_e32 v36, v35, v36
	v_xor_b32_e32 v38, 0x7fffffff, v33
	v_sub_nc_u32_e32 v39, 0, v33
	v_add_nc_u32_e32 v35, -1, v35
	v_mul_lo_u32 v36, 0xbc8f, v36
	v_cvt_f32_u32_e32 v35, v35
	v_fma_f32 v35, 0x30000000, v35, 0
	v_cmp_lt_u32_e32 vcc_lo, v36, v33
	v_cndmask_b32_e32 v33, v39, v38, vcc_lo
	v_cmp_gt_f32_e32 vcc_lo, 0xf800000, v34
	v_add_f32_e32 v38, 1.0, v10
	v_add_nc_u32_e32 v33, v33, v36
	v_cndmask_b32_e32 v34, v34, v37, vcc_lo
	v_add_nc_u32_e32 v36, -1, v33
	v_cvt_f32_u32_e32 v36, v36
	v_fma_f32 v36, 0x30000000, v36, 0
	v_mul_f32_e32 v36, v36, v36
	v_fmac_f32_e32 v36, v35, v35
	v_sqrt_f32_e32 v35, v34
	v_mul_f32_e32 v37, 0x4f800000, v36
	v_cmp_gt_f32_e64 s12, 0xf800000, v36
	v_cndmask_b32_e64 v36, v36, v37, s12
	v_add_nc_u32_e32 v37, -1, v35
	v_add_nc_u32_e32 v39, 1, v35
	v_sqrt_f32_e32 v40, v36
	v_fma_f32 v41, -v37, v35, v34
	v_fma_f32 v42, -v39, v35, v34
	v_cmp_ge_f32_e64 s13, 0, v41
	v_cndmask_b32_e64 v35, v35, v37, s13
	v_cmp_lt_f32_e64 s13, 0, v42
	v_add_nc_u32_e32 v37, -1, v40
	v_cndmask_b32_e64 v35, v35, v39, s13
	v_add_nc_u32_e32 v39, 1, v40
	v_fma_f32 v41, -v37, v40, v36
	v_mul_f32_e32 v42, 0x37800000, v35
	v_fma_f32 v43, -v39, v40, v36
	v_cmp_ge_f32_e64 s13, 0, v41
	v_cndmask_b32_e32 v35, v35, v42, vcc_lo
	v_cmp_class_f32_e64 vcc_lo, v34, 0x260
	v_cndmask_b32_e64 v37, v40, v37, s13
	v_cmp_lt_f32_e64 s13, 0, v43
	v_cndmask_b32_e32 v34, v35, v34, vcc_lo
	v_cndmask_b32_e64 v37, v37, v39, s13
	v_cmp_nge_f32_e32 vcc_lo, 1.0, v34
	v_mul_f32_e32 v35, 0x37800000, v37
	v_cndmask_b32_e32 v10, v38, v10, vcc_lo
	v_cmp_class_f32_e64 vcc_lo, v36, 0x260
	v_cndmask_b32_e64 v34, v37, v35, s12
	v_add_f32_e32 v35, 1.0, v10
	v_cndmask_b32_e32 v34, v34, v36, vcc_lo
	v_cmp_nge_f32_e32 vcc_lo, 1.0, v34
	v_cndmask_b32_e32 v10, v35, v10, vcc_lo
	s_cbranch_scc1 .LBB35_154
; %bb.155:
	v_mul_f32_e32 v10, 4.0, v10
	v_div_scale_f32 v33, null, 0x461c4000, 0x461c4000, v10
	v_rcp_f32_e32 v34, v33
	v_fma_f32 v35, -v33, v34, 1.0
	v_fmac_f32_e32 v34, v35, v34
	v_div_scale_f32 v35, vcc_lo, v10, 0x461c4000, v10
	v_mul_f32_e32 v36, v35, v34
	v_fma_f32 v37, -v33, v36, v35
	v_fmac_f32_e32 v36, v37, v34
	v_fma_f32 v33, -v33, v36, v35
	v_div_fmas_f32 v33, v33, v34, v36
	v_div_fixup_f32 v10, v33, 0x461c4000, v10
.LBB35_156:
	s_or_b32 exec_lo, exec_lo, s14
	v_or_b32_e32 v33, 0x900, v0
	v_cmp_gt_u32_e64 s12, s45, v33
	s_and_saveexec_b32 s15, s12
	s_cbranch_execz .LBB35_160
; %bb.157:
	v_add_nc_u32_e32 v11, s37, v33
	s_movk_i32 s16, 0x2710
	v_lshlrev_b32_e32 v33, 12, v11
	v_add3_u32 v11, v11, v33, 0x7ed55d16
	v_lshrrev_b32_e32 v33, 19, v11
	v_xor3_b32 v11, v11, v33, 0xc761c23c
	v_lshl_add_u32 v11, v11, 5, v11
	v_add_nc_u32_e32 v33, 0xe9f8cc1d, v11
	v_lshl_add_u32 v11, v11, 9, 0xaccf6200
	v_xor_b32_e32 v11, v33, v11
	v_lshlrev_b32_e32 v33, 3, v11
	v_add3_u32 v11, v11, v33, 0xfd7046c5
	v_lshrrev_b32_e32 v33, 16, v11
	v_xor3_b32 v11, v11, v33, 0xb55a4f09
	v_mul_hi_u32 v33, v11, 3
	v_sub_nc_u32_e32 v34, v11, v33
	v_lshrrev_b32_e32 v34, 1, v34
	v_add_nc_u32_e32 v33, v34, v33
	v_lshrrev_b32_e32 v33, 30, v33
	v_mul_lo_u32 v33, 0x7fffffff, v33
	v_sub_nc_u32_e32 v11, v11, v33
	v_max_u32_e32 v33, 1, v11
	v_mov_b32_e32 v11, 0
.LBB35_158:                             ; =>This Inner Loop Header: Depth=1
	v_mul_hi_u32 v34, 0xbc8f1391, v33
	s_add_i32 s16, s16, -2
	s_cmp_lg_u32 s16, 0
	v_lshrrev_b32_e32 v34, 15, v34
	v_mul_u32_u24_e32 v35, 0xadc8, v34
	v_mul_u32_u24_e32 v34, 0xd47, v34
	v_sub_nc_u32_e32 v33, v33, v35
	v_xor_b32_e32 v35, 0x7fffffff, v34
	v_sub_nc_u32_e32 v36, 0, v34
	v_mul_lo_u32 v33, 0xbc8f, v33
	v_cmp_lt_u32_e32 vcc_lo, v33, v34
	v_cndmask_b32_e32 v34, v36, v35, vcc_lo
	v_add_nc_u32_e32 v33, v34, v33
	v_mul_hi_u32 v34, 0xbc8f1391, v33
	v_lshrrev_b32_e32 v34, 15, v34
	v_mul_u32_u24_e32 v35, 0xadc8, v34
	v_mul_u32_u24_e32 v34, 0xd47, v34
	v_sub_nc_u32_e32 v35, v33, v35
	v_xor_b32_e32 v36, 0x7fffffff, v34
	v_sub_nc_u32_e32 v37, 0, v34
	v_add_nc_u32_e32 v33, -1, v33
	v_mul_lo_u32 v35, 0xbc8f, v35
	v_cvt_f32_u32_e32 v33, v33
	v_cmp_lt_u32_e32 vcc_lo, v35, v34
	v_cndmask_b32_e32 v34, v37, v36, vcc_lo
	v_add_nc_u32_e32 v34, v34, v35
	v_mul_hi_u32 v35, 0xbc8f1391, v34
	v_lshrrev_b32_e32 v35, 15, v35
	v_mul_u32_u24_e32 v36, 0xadc8, v35
	v_mul_u32_u24_e32 v35, 0xd47, v35
	v_sub_nc_u32_e32 v36, v34, v36
	v_xor_b32_e32 v37, 0x7fffffff, v35
	v_sub_nc_u32_e32 v38, 0, v35
	v_add_nc_u32_e32 v34, -1, v34
	v_mul_lo_u32 v36, 0xbc8f, v36
	v_cvt_f32_u32_e32 v34, v34
	v_fma_f32 v34, 0x30000000, v34, 0
	v_cmp_lt_u32_e32 vcc_lo, v36, v35
	v_mul_f32_e32 v34, v34, v34
	v_cndmask_b32_e32 v35, v38, v37, vcc_lo
	v_fma_f32 v37, 0x30000000, v33, 0
	v_add_nc_u32_e32 v35, v35, v36
	v_fmac_f32_e32 v34, v37, v37
	v_mul_hi_u32 v36, 0xbc8f1391, v35
	v_mul_f32_e32 v37, 0x4f800000, v34
	v_lshrrev_b32_e32 v33, 15, v36
	v_mul_u32_u24_e32 v36, 0xadc8, v33
	v_mul_u32_u24_e32 v33, 0xd47, v33
	v_sub_nc_u32_e32 v36, v35, v36
	v_xor_b32_e32 v38, 0x7fffffff, v33
	v_sub_nc_u32_e32 v39, 0, v33
	v_add_nc_u32_e32 v35, -1, v35
	v_mul_lo_u32 v36, 0xbc8f, v36
	v_cvt_f32_u32_e32 v35, v35
	v_fma_f32 v35, 0x30000000, v35, 0
	v_cmp_lt_u32_e32 vcc_lo, v36, v33
	v_cndmask_b32_e32 v33, v39, v38, vcc_lo
	v_cmp_gt_f32_e32 vcc_lo, 0xf800000, v34
	v_add_f32_e32 v38, 1.0, v11
	v_add_nc_u32_e32 v33, v33, v36
	v_cndmask_b32_e32 v34, v34, v37, vcc_lo
	v_add_nc_u32_e32 v36, -1, v33
	v_cvt_f32_u32_e32 v36, v36
	v_fma_f32 v36, 0x30000000, v36, 0
	v_mul_f32_e32 v36, v36, v36
	v_fmac_f32_e32 v36, v35, v35
	v_sqrt_f32_e32 v35, v34
	v_mul_f32_e32 v37, 0x4f800000, v36
	v_cmp_gt_f32_e64 s13, 0xf800000, v36
	v_cndmask_b32_e64 v36, v36, v37, s13
	v_add_nc_u32_e32 v37, -1, v35
	v_add_nc_u32_e32 v39, 1, v35
	v_sqrt_f32_e32 v40, v36
	v_fma_f32 v41, -v37, v35, v34
	v_fma_f32 v42, -v39, v35, v34
	v_cmp_ge_f32_e64 s14, 0, v41
	v_cndmask_b32_e64 v35, v35, v37, s14
	v_cmp_lt_f32_e64 s14, 0, v42
	v_add_nc_u32_e32 v37, -1, v40
	v_cndmask_b32_e64 v35, v35, v39, s14
	v_add_nc_u32_e32 v39, 1, v40
	v_fma_f32 v41, -v37, v40, v36
	v_mul_f32_e32 v42, 0x37800000, v35
	v_fma_f32 v43, -v39, v40, v36
	v_cmp_ge_f32_e64 s14, 0, v41
	v_cndmask_b32_e32 v35, v35, v42, vcc_lo
	v_cmp_class_f32_e64 vcc_lo, v34, 0x260
	v_cndmask_b32_e64 v37, v40, v37, s14
	v_cmp_lt_f32_e64 s14, 0, v43
	v_cndmask_b32_e32 v34, v35, v34, vcc_lo
	v_cndmask_b32_e64 v37, v37, v39, s14
	v_cmp_nge_f32_e32 vcc_lo, 1.0, v34
	v_mul_f32_e32 v35, 0x37800000, v37
	v_cndmask_b32_e32 v11, v38, v11, vcc_lo
	v_cmp_class_f32_e64 vcc_lo, v36, 0x260
	v_cndmask_b32_e64 v34, v37, v35, s13
	v_add_f32_e32 v35, 1.0, v11
	v_cndmask_b32_e32 v34, v34, v36, vcc_lo
	v_cmp_nge_f32_e32 vcc_lo, 1.0, v34
	v_cndmask_b32_e32 v11, v35, v11, vcc_lo
	s_cbranch_scc1 .LBB35_158
; %bb.159:
	v_mul_f32_e32 v11, 4.0, v11
	v_div_scale_f32 v33, null, 0x461c4000, 0x461c4000, v11
	v_rcp_f32_e32 v34, v33
	v_fma_f32 v35, -v33, v34, 1.0
	v_fmac_f32_e32 v34, v35, v34
	v_div_scale_f32 v35, vcc_lo, v11, 0x461c4000, v11
	v_mul_f32_e32 v36, v35, v34
	v_fma_f32 v37, -v33, v36, v35
	v_fmac_f32_e32 v36, v37, v34
	v_fma_f32 v33, -v33, v36, v35
	v_div_fmas_f32 v33, v33, v34, v36
	v_div_fixup_f32 v11, v33, 0x461c4000, v11
.LBB35_160:
	s_or_b32 exec_lo, exec_lo, s15
	v_or_b32_e32 v33, 0xa00, v0
	v_cmp_gt_u32_e64 s13, s45, v33
	s_and_saveexec_b32 s16, s13
	s_cbranch_execz .LBB35_164
; %bb.161:
	v_add_nc_u32_e32 v12, s37, v33
	s_movk_i32 s17, 0x2710
	v_lshlrev_b32_e32 v33, 12, v12
	v_add3_u32 v12, v12, v33, 0x7ed55d16
	v_lshrrev_b32_e32 v33, 19, v12
	v_xor3_b32 v12, v12, v33, 0xc761c23c
	v_lshl_add_u32 v12, v12, 5, v12
	v_add_nc_u32_e32 v33, 0xe9f8cc1d, v12
	v_lshl_add_u32 v12, v12, 9, 0xaccf6200
	v_xor_b32_e32 v12, v33, v12
	v_lshlrev_b32_e32 v33, 3, v12
	v_add3_u32 v12, v12, v33, 0xfd7046c5
	v_lshrrev_b32_e32 v33, 16, v12
	v_xor3_b32 v12, v12, v33, 0xb55a4f09
	v_mul_hi_u32 v33, v12, 3
	v_sub_nc_u32_e32 v34, v12, v33
	v_lshrrev_b32_e32 v34, 1, v34
	v_add_nc_u32_e32 v33, v34, v33
	v_lshrrev_b32_e32 v33, 30, v33
	v_mul_lo_u32 v33, 0x7fffffff, v33
	v_sub_nc_u32_e32 v12, v12, v33
	v_max_u32_e32 v33, 1, v12
	v_mov_b32_e32 v12, 0
.LBB35_162:                             ; =>This Inner Loop Header: Depth=1
	v_mul_hi_u32 v34, 0xbc8f1391, v33
	s_add_i32 s17, s17, -2
	s_cmp_lg_u32 s17, 0
	v_lshrrev_b32_e32 v34, 15, v34
	v_mul_u32_u24_e32 v35, 0xadc8, v34
	v_mul_u32_u24_e32 v34, 0xd47, v34
	v_sub_nc_u32_e32 v33, v33, v35
	v_xor_b32_e32 v35, 0x7fffffff, v34
	v_sub_nc_u32_e32 v36, 0, v34
	v_mul_lo_u32 v33, 0xbc8f, v33
	v_cmp_lt_u32_e32 vcc_lo, v33, v34
	v_cndmask_b32_e32 v34, v36, v35, vcc_lo
	v_add_nc_u32_e32 v33, v34, v33
	v_mul_hi_u32 v34, 0xbc8f1391, v33
	v_lshrrev_b32_e32 v34, 15, v34
	v_mul_u32_u24_e32 v35, 0xadc8, v34
	v_mul_u32_u24_e32 v34, 0xd47, v34
	v_sub_nc_u32_e32 v35, v33, v35
	v_xor_b32_e32 v36, 0x7fffffff, v34
	v_sub_nc_u32_e32 v37, 0, v34
	v_add_nc_u32_e32 v33, -1, v33
	v_mul_lo_u32 v35, 0xbc8f, v35
	v_cvt_f32_u32_e32 v33, v33
	v_cmp_lt_u32_e32 vcc_lo, v35, v34
	v_cndmask_b32_e32 v34, v37, v36, vcc_lo
	v_add_nc_u32_e32 v34, v34, v35
	v_mul_hi_u32 v35, 0xbc8f1391, v34
	v_lshrrev_b32_e32 v35, 15, v35
	v_mul_u32_u24_e32 v36, 0xadc8, v35
	v_mul_u32_u24_e32 v35, 0xd47, v35
	v_sub_nc_u32_e32 v36, v34, v36
	v_xor_b32_e32 v37, 0x7fffffff, v35
	v_sub_nc_u32_e32 v38, 0, v35
	v_add_nc_u32_e32 v34, -1, v34
	v_mul_lo_u32 v36, 0xbc8f, v36
	v_cvt_f32_u32_e32 v34, v34
	v_fma_f32 v34, 0x30000000, v34, 0
	v_cmp_lt_u32_e32 vcc_lo, v36, v35
	v_mul_f32_e32 v34, v34, v34
	v_cndmask_b32_e32 v35, v38, v37, vcc_lo
	v_fma_f32 v37, 0x30000000, v33, 0
	v_add_nc_u32_e32 v35, v35, v36
	v_fmac_f32_e32 v34, v37, v37
	v_mul_hi_u32 v36, 0xbc8f1391, v35
	v_mul_f32_e32 v37, 0x4f800000, v34
	v_lshrrev_b32_e32 v33, 15, v36
	v_mul_u32_u24_e32 v36, 0xadc8, v33
	v_mul_u32_u24_e32 v33, 0xd47, v33
	v_sub_nc_u32_e32 v36, v35, v36
	v_xor_b32_e32 v38, 0x7fffffff, v33
	v_sub_nc_u32_e32 v39, 0, v33
	v_add_nc_u32_e32 v35, -1, v35
	v_mul_lo_u32 v36, 0xbc8f, v36
	v_cvt_f32_u32_e32 v35, v35
	v_fma_f32 v35, 0x30000000, v35, 0
	v_cmp_lt_u32_e32 vcc_lo, v36, v33
	v_cndmask_b32_e32 v33, v39, v38, vcc_lo
	v_cmp_gt_f32_e32 vcc_lo, 0xf800000, v34
	v_add_f32_e32 v38, 1.0, v12
	v_add_nc_u32_e32 v33, v33, v36
	v_cndmask_b32_e32 v34, v34, v37, vcc_lo
	v_add_nc_u32_e32 v36, -1, v33
	v_cvt_f32_u32_e32 v36, v36
	v_fma_f32 v36, 0x30000000, v36, 0
	v_mul_f32_e32 v36, v36, v36
	v_fmac_f32_e32 v36, v35, v35
	v_sqrt_f32_e32 v35, v34
	v_mul_f32_e32 v37, 0x4f800000, v36
	v_cmp_gt_f32_e64 s14, 0xf800000, v36
	v_cndmask_b32_e64 v36, v36, v37, s14
	v_add_nc_u32_e32 v37, -1, v35
	v_add_nc_u32_e32 v39, 1, v35
	v_sqrt_f32_e32 v40, v36
	v_fma_f32 v41, -v37, v35, v34
	v_fma_f32 v42, -v39, v35, v34
	v_cmp_ge_f32_e64 s15, 0, v41
	v_cndmask_b32_e64 v35, v35, v37, s15
	v_cmp_lt_f32_e64 s15, 0, v42
	v_add_nc_u32_e32 v37, -1, v40
	v_cndmask_b32_e64 v35, v35, v39, s15
	v_add_nc_u32_e32 v39, 1, v40
	v_fma_f32 v41, -v37, v40, v36
	v_mul_f32_e32 v42, 0x37800000, v35
	v_fma_f32 v43, -v39, v40, v36
	v_cmp_ge_f32_e64 s15, 0, v41
	v_cndmask_b32_e32 v35, v35, v42, vcc_lo
	v_cmp_class_f32_e64 vcc_lo, v34, 0x260
	v_cndmask_b32_e64 v37, v40, v37, s15
	v_cmp_lt_f32_e64 s15, 0, v43
	v_cndmask_b32_e32 v34, v35, v34, vcc_lo
	v_cndmask_b32_e64 v37, v37, v39, s15
	v_cmp_nge_f32_e32 vcc_lo, 1.0, v34
	v_mul_f32_e32 v35, 0x37800000, v37
	v_cndmask_b32_e32 v12, v38, v12, vcc_lo
	v_cmp_class_f32_e64 vcc_lo, v36, 0x260
	v_cndmask_b32_e64 v34, v37, v35, s14
	v_add_f32_e32 v35, 1.0, v12
	v_cndmask_b32_e32 v34, v34, v36, vcc_lo
	v_cmp_nge_f32_e32 vcc_lo, 1.0, v34
	v_cndmask_b32_e32 v12, v35, v12, vcc_lo
	s_cbranch_scc1 .LBB35_162
; %bb.163:
	v_mul_f32_e32 v12, 4.0, v12
	v_div_scale_f32 v33, null, 0x461c4000, 0x461c4000, v12
	v_rcp_f32_e32 v34, v33
	v_fma_f32 v35, -v33, v34, 1.0
	v_fmac_f32_e32 v34, v35, v34
	v_div_scale_f32 v35, vcc_lo, v12, 0x461c4000, v12
	v_mul_f32_e32 v36, v35, v34
	v_fma_f32 v37, -v33, v36, v35
	v_fmac_f32_e32 v36, v37, v34
	v_fma_f32 v33, -v33, v36, v35
	v_div_fmas_f32 v33, v33, v34, v36
	v_div_fixup_f32 v12, v33, 0x461c4000, v12
.LBB35_164:
	s_or_b32 exec_lo, exec_lo, s16
	v_or_b32_e32 v33, 0xb00, v0
	v_cmp_gt_u32_e64 s14, s45, v33
	s_and_saveexec_b32 s17, s14
	s_cbranch_execz .LBB35_168
; %bb.165:
	v_add_nc_u32_e32 v13, s37, v33
	s_movk_i32 s18, 0x2710
	v_lshlrev_b32_e32 v33, 12, v13
	v_add3_u32 v13, v13, v33, 0x7ed55d16
	v_lshrrev_b32_e32 v33, 19, v13
	v_xor3_b32 v13, v13, v33, 0xc761c23c
	v_lshl_add_u32 v13, v13, 5, v13
	v_add_nc_u32_e32 v33, 0xe9f8cc1d, v13
	v_lshl_add_u32 v13, v13, 9, 0xaccf6200
	v_xor_b32_e32 v13, v33, v13
	v_lshlrev_b32_e32 v33, 3, v13
	v_add3_u32 v13, v13, v33, 0xfd7046c5
	v_lshrrev_b32_e32 v33, 16, v13
	v_xor3_b32 v13, v13, v33, 0xb55a4f09
	v_mul_hi_u32 v33, v13, 3
	v_sub_nc_u32_e32 v34, v13, v33
	v_lshrrev_b32_e32 v34, 1, v34
	v_add_nc_u32_e32 v33, v34, v33
	v_lshrrev_b32_e32 v33, 30, v33
	v_mul_lo_u32 v33, 0x7fffffff, v33
	v_sub_nc_u32_e32 v13, v13, v33
	v_max_u32_e32 v33, 1, v13
	v_mov_b32_e32 v13, 0
.LBB35_166:                             ; =>This Inner Loop Header: Depth=1
	v_mul_hi_u32 v34, 0xbc8f1391, v33
	s_add_i32 s18, s18, -2
	s_cmp_lg_u32 s18, 0
	v_lshrrev_b32_e32 v34, 15, v34
	v_mul_u32_u24_e32 v35, 0xadc8, v34
	v_mul_u32_u24_e32 v34, 0xd47, v34
	v_sub_nc_u32_e32 v33, v33, v35
	v_xor_b32_e32 v35, 0x7fffffff, v34
	v_sub_nc_u32_e32 v36, 0, v34
	v_mul_lo_u32 v33, 0xbc8f, v33
	v_cmp_lt_u32_e32 vcc_lo, v33, v34
	v_cndmask_b32_e32 v34, v36, v35, vcc_lo
	v_add_nc_u32_e32 v33, v34, v33
	v_mul_hi_u32 v34, 0xbc8f1391, v33
	v_lshrrev_b32_e32 v34, 15, v34
	v_mul_u32_u24_e32 v35, 0xadc8, v34
	v_mul_u32_u24_e32 v34, 0xd47, v34
	v_sub_nc_u32_e32 v35, v33, v35
	v_xor_b32_e32 v36, 0x7fffffff, v34
	v_sub_nc_u32_e32 v37, 0, v34
	v_add_nc_u32_e32 v33, -1, v33
	v_mul_lo_u32 v35, 0xbc8f, v35
	v_cvt_f32_u32_e32 v33, v33
	v_cmp_lt_u32_e32 vcc_lo, v35, v34
	v_cndmask_b32_e32 v34, v37, v36, vcc_lo
	v_add_nc_u32_e32 v34, v34, v35
	v_mul_hi_u32 v35, 0xbc8f1391, v34
	v_lshrrev_b32_e32 v35, 15, v35
	v_mul_u32_u24_e32 v36, 0xadc8, v35
	v_mul_u32_u24_e32 v35, 0xd47, v35
	v_sub_nc_u32_e32 v36, v34, v36
	v_xor_b32_e32 v37, 0x7fffffff, v35
	v_sub_nc_u32_e32 v38, 0, v35
	v_add_nc_u32_e32 v34, -1, v34
	v_mul_lo_u32 v36, 0xbc8f, v36
	v_cvt_f32_u32_e32 v34, v34
	v_fma_f32 v34, 0x30000000, v34, 0
	v_cmp_lt_u32_e32 vcc_lo, v36, v35
	v_mul_f32_e32 v34, v34, v34
	v_cndmask_b32_e32 v35, v38, v37, vcc_lo
	v_fma_f32 v37, 0x30000000, v33, 0
	v_add_nc_u32_e32 v35, v35, v36
	v_fmac_f32_e32 v34, v37, v37
	v_mul_hi_u32 v36, 0xbc8f1391, v35
	v_mul_f32_e32 v37, 0x4f800000, v34
	v_lshrrev_b32_e32 v33, 15, v36
	v_mul_u32_u24_e32 v36, 0xadc8, v33
	v_mul_u32_u24_e32 v33, 0xd47, v33
	v_sub_nc_u32_e32 v36, v35, v36
	v_xor_b32_e32 v38, 0x7fffffff, v33
	v_sub_nc_u32_e32 v39, 0, v33
	v_add_nc_u32_e32 v35, -1, v35
	v_mul_lo_u32 v36, 0xbc8f, v36
	v_cvt_f32_u32_e32 v35, v35
	v_fma_f32 v35, 0x30000000, v35, 0
	v_cmp_lt_u32_e32 vcc_lo, v36, v33
	v_cndmask_b32_e32 v33, v39, v38, vcc_lo
	v_cmp_gt_f32_e32 vcc_lo, 0xf800000, v34
	v_add_f32_e32 v38, 1.0, v13
	v_add_nc_u32_e32 v33, v33, v36
	v_cndmask_b32_e32 v34, v34, v37, vcc_lo
	v_add_nc_u32_e32 v36, -1, v33
	v_cvt_f32_u32_e32 v36, v36
	v_fma_f32 v36, 0x30000000, v36, 0
	v_mul_f32_e32 v36, v36, v36
	v_fmac_f32_e32 v36, v35, v35
	v_sqrt_f32_e32 v35, v34
	v_mul_f32_e32 v37, 0x4f800000, v36
	v_cmp_gt_f32_e64 s15, 0xf800000, v36
	v_cndmask_b32_e64 v36, v36, v37, s15
	v_add_nc_u32_e32 v37, -1, v35
	v_add_nc_u32_e32 v39, 1, v35
	v_sqrt_f32_e32 v40, v36
	v_fma_f32 v41, -v37, v35, v34
	v_fma_f32 v42, -v39, v35, v34
	v_cmp_ge_f32_e64 s16, 0, v41
	v_cndmask_b32_e64 v35, v35, v37, s16
	v_cmp_lt_f32_e64 s16, 0, v42
	v_add_nc_u32_e32 v37, -1, v40
	v_cndmask_b32_e64 v35, v35, v39, s16
	v_add_nc_u32_e32 v39, 1, v40
	v_fma_f32 v41, -v37, v40, v36
	v_mul_f32_e32 v42, 0x37800000, v35
	v_fma_f32 v43, -v39, v40, v36
	v_cmp_ge_f32_e64 s16, 0, v41
	v_cndmask_b32_e32 v35, v35, v42, vcc_lo
	v_cmp_class_f32_e64 vcc_lo, v34, 0x260
	v_cndmask_b32_e64 v37, v40, v37, s16
	v_cmp_lt_f32_e64 s16, 0, v43
	v_cndmask_b32_e32 v34, v35, v34, vcc_lo
	v_cndmask_b32_e64 v37, v37, v39, s16
	v_cmp_nge_f32_e32 vcc_lo, 1.0, v34
	v_mul_f32_e32 v35, 0x37800000, v37
	v_cndmask_b32_e32 v13, v38, v13, vcc_lo
	v_cmp_class_f32_e64 vcc_lo, v36, 0x260
	v_cndmask_b32_e64 v34, v37, v35, s15
	v_add_f32_e32 v35, 1.0, v13
	v_cndmask_b32_e32 v34, v34, v36, vcc_lo
	v_cmp_nge_f32_e32 vcc_lo, 1.0, v34
	v_cndmask_b32_e32 v13, v35, v13, vcc_lo
	s_cbranch_scc1 .LBB35_166
; %bb.167:
	v_mul_f32_e32 v13, 4.0, v13
	v_div_scale_f32 v33, null, 0x461c4000, 0x461c4000, v13
	v_rcp_f32_e32 v34, v33
	v_fma_f32 v35, -v33, v34, 1.0
	v_fmac_f32_e32 v34, v35, v34
	v_div_scale_f32 v35, vcc_lo, v13, 0x461c4000, v13
	v_mul_f32_e32 v36, v35, v34
	v_fma_f32 v37, -v33, v36, v35
	v_fmac_f32_e32 v36, v37, v34
	v_fma_f32 v33, -v33, v36, v35
	v_div_fmas_f32 v33, v33, v34, v36
	v_div_fixup_f32 v13, v33, 0x461c4000, v13
.LBB35_168:
	s_or_b32 exec_lo, exec_lo, s17
	v_or_b32_e32 v33, 0xc00, v0
	v_cmp_gt_u32_e64 s15, s45, v33
	s_and_saveexec_b32 s18, s15
	s_cbranch_execz .LBB35_172
; %bb.169:
	v_add_nc_u32_e32 v14, s37, v33
	s_movk_i32 s19, 0x2710
	v_lshlrev_b32_e32 v33, 12, v14
	v_add3_u32 v14, v14, v33, 0x7ed55d16
	v_lshrrev_b32_e32 v33, 19, v14
	v_xor3_b32 v14, v14, v33, 0xc761c23c
	v_lshl_add_u32 v14, v14, 5, v14
	v_add_nc_u32_e32 v33, 0xe9f8cc1d, v14
	v_lshl_add_u32 v14, v14, 9, 0xaccf6200
	v_xor_b32_e32 v14, v33, v14
	v_lshlrev_b32_e32 v33, 3, v14
	v_add3_u32 v14, v14, v33, 0xfd7046c5
	v_lshrrev_b32_e32 v33, 16, v14
	v_xor3_b32 v14, v14, v33, 0xb55a4f09
	v_mul_hi_u32 v33, v14, 3
	v_sub_nc_u32_e32 v34, v14, v33
	v_lshrrev_b32_e32 v34, 1, v34
	v_add_nc_u32_e32 v33, v34, v33
	v_lshrrev_b32_e32 v33, 30, v33
	v_mul_lo_u32 v33, 0x7fffffff, v33
	v_sub_nc_u32_e32 v14, v14, v33
	v_max_u32_e32 v33, 1, v14
	v_mov_b32_e32 v14, 0
.LBB35_170:                             ; =>This Inner Loop Header: Depth=1
	v_mul_hi_u32 v34, 0xbc8f1391, v33
	s_add_i32 s19, s19, -2
	s_cmp_lg_u32 s19, 0
	v_lshrrev_b32_e32 v34, 15, v34
	v_mul_u32_u24_e32 v35, 0xadc8, v34
	v_mul_u32_u24_e32 v34, 0xd47, v34
	v_sub_nc_u32_e32 v33, v33, v35
	v_xor_b32_e32 v35, 0x7fffffff, v34
	v_sub_nc_u32_e32 v36, 0, v34
	v_mul_lo_u32 v33, 0xbc8f, v33
	v_cmp_lt_u32_e32 vcc_lo, v33, v34
	v_cndmask_b32_e32 v34, v36, v35, vcc_lo
	v_add_nc_u32_e32 v33, v34, v33
	v_mul_hi_u32 v34, 0xbc8f1391, v33
	v_lshrrev_b32_e32 v34, 15, v34
	v_mul_u32_u24_e32 v35, 0xadc8, v34
	v_mul_u32_u24_e32 v34, 0xd47, v34
	v_sub_nc_u32_e32 v35, v33, v35
	v_xor_b32_e32 v36, 0x7fffffff, v34
	v_sub_nc_u32_e32 v37, 0, v34
	v_add_nc_u32_e32 v33, -1, v33
	v_mul_lo_u32 v35, 0xbc8f, v35
	v_cvt_f32_u32_e32 v33, v33
	v_cmp_lt_u32_e32 vcc_lo, v35, v34
	v_cndmask_b32_e32 v34, v37, v36, vcc_lo
	v_add_nc_u32_e32 v34, v34, v35
	v_mul_hi_u32 v35, 0xbc8f1391, v34
	v_lshrrev_b32_e32 v35, 15, v35
	v_mul_u32_u24_e32 v36, 0xadc8, v35
	v_mul_u32_u24_e32 v35, 0xd47, v35
	v_sub_nc_u32_e32 v36, v34, v36
	v_xor_b32_e32 v37, 0x7fffffff, v35
	v_sub_nc_u32_e32 v38, 0, v35
	v_add_nc_u32_e32 v34, -1, v34
	v_mul_lo_u32 v36, 0xbc8f, v36
	v_cvt_f32_u32_e32 v34, v34
	v_fma_f32 v34, 0x30000000, v34, 0
	v_cmp_lt_u32_e32 vcc_lo, v36, v35
	v_mul_f32_e32 v34, v34, v34
	v_cndmask_b32_e32 v35, v38, v37, vcc_lo
	v_fma_f32 v37, 0x30000000, v33, 0
	v_add_nc_u32_e32 v35, v35, v36
	v_fmac_f32_e32 v34, v37, v37
	v_mul_hi_u32 v36, 0xbc8f1391, v35
	v_mul_f32_e32 v37, 0x4f800000, v34
	v_lshrrev_b32_e32 v33, 15, v36
	v_mul_u32_u24_e32 v36, 0xadc8, v33
	v_mul_u32_u24_e32 v33, 0xd47, v33
	v_sub_nc_u32_e32 v36, v35, v36
	v_xor_b32_e32 v38, 0x7fffffff, v33
	v_sub_nc_u32_e32 v39, 0, v33
	v_add_nc_u32_e32 v35, -1, v35
	v_mul_lo_u32 v36, 0xbc8f, v36
	v_cvt_f32_u32_e32 v35, v35
	v_fma_f32 v35, 0x30000000, v35, 0
	v_cmp_lt_u32_e32 vcc_lo, v36, v33
	v_cndmask_b32_e32 v33, v39, v38, vcc_lo
	v_cmp_gt_f32_e32 vcc_lo, 0xf800000, v34
	v_add_f32_e32 v38, 1.0, v14
	v_add_nc_u32_e32 v33, v33, v36
	v_cndmask_b32_e32 v34, v34, v37, vcc_lo
	v_add_nc_u32_e32 v36, -1, v33
	v_cvt_f32_u32_e32 v36, v36
	v_fma_f32 v36, 0x30000000, v36, 0
	v_mul_f32_e32 v36, v36, v36
	v_fmac_f32_e32 v36, v35, v35
	v_sqrt_f32_e32 v35, v34
	v_mul_f32_e32 v37, 0x4f800000, v36
	v_cmp_gt_f32_e64 s16, 0xf800000, v36
	v_cndmask_b32_e64 v36, v36, v37, s16
	v_add_nc_u32_e32 v37, -1, v35
	v_add_nc_u32_e32 v39, 1, v35
	v_sqrt_f32_e32 v40, v36
	v_fma_f32 v41, -v37, v35, v34
	v_fma_f32 v42, -v39, v35, v34
	v_cmp_ge_f32_e64 s17, 0, v41
	v_cndmask_b32_e64 v35, v35, v37, s17
	v_cmp_lt_f32_e64 s17, 0, v42
	v_add_nc_u32_e32 v37, -1, v40
	v_cndmask_b32_e64 v35, v35, v39, s17
	v_add_nc_u32_e32 v39, 1, v40
	v_fma_f32 v41, -v37, v40, v36
	v_mul_f32_e32 v42, 0x37800000, v35
	v_fma_f32 v43, -v39, v40, v36
	v_cmp_ge_f32_e64 s17, 0, v41
	v_cndmask_b32_e32 v35, v35, v42, vcc_lo
	v_cmp_class_f32_e64 vcc_lo, v34, 0x260
	v_cndmask_b32_e64 v37, v40, v37, s17
	v_cmp_lt_f32_e64 s17, 0, v43
	v_cndmask_b32_e32 v34, v35, v34, vcc_lo
	v_cndmask_b32_e64 v37, v37, v39, s17
	v_cmp_nge_f32_e32 vcc_lo, 1.0, v34
	v_mul_f32_e32 v35, 0x37800000, v37
	v_cndmask_b32_e32 v14, v38, v14, vcc_lo
	v_cmp_class_f32_e64 vcc_lo, v36, 0x260
	v_cndmask_b32_e64 v34, v37, v35, s16
	v_add_f32_e32 v35, 1.0, v14
	v_cndmask_b32_e32 v34, v34, v36, vcc_lo
	v_cmp_nge_f32_e32 vcc_lo, 1.0, v34
	v_cndmask_b32_e32 v14, v35, v14, vcc_lo
	s_cbranch_scc1 .LBB35_170
; %bb.171:
	v_mul_f32_e32 v14, 4.0, v14
	v_div_scale_f32 v33, null, 0x461c4000, 0x461c4000, v14
	v_rcp_f32_e32 v34, v33
	v_fma_f32 v35, -v33, v34, 1.0
	v_fmac_f32_e32 v34, v35, v34
	v_div_scale_f32 v35, vcc_lo, v14, 0x461c4000, v14
	v_mul_f32_e32 v36, v35, v34
	v_fma_f32 v37, -v33, v36, v35
	v_fmac_f32_e32 v36, v37, v34
	v_fma_f32 v33, -v33, v36, v35
	v_div_fmas_f32 v33, v33, v34, v36
	v_div_fixup_f32 v14, v33, 0x461c4000, v14
.LBB35_172:
	s_or_b32 exec_lo, exec_lo, s18
	v_or_b32_e32 v33, 0xd00, v0
	v_cmp_gt_u32_e64 s16, s45, v33
	s_and_saveexec_b32 s19, s16
	s_cbranch_execz .LBB35_176
; %bb.173:
	v_add_nc_u32_e32 v15, s37, v33
	s_movk_i32 s20, 0x2710
	v_lshlrev_b32_e32 v33, 12, v15
	v_add3_u32 v15, v15, v33, 0x7ed55d16
	v_lshrrev_b32_e32 v33, 19, v15
	v_xor3_b32 v15, v15, v33, 0xc761c23c
	v_lshl_add_u32 v15, v15, 5, v15
	v_add_nc_u32_e32 v33, 0xe9f8cc1d, v15
	v_lshl_add_u32 v15, v15, 9, 0xaccf6200
	v_xor_b32_e32 v15, v33, v15
	v_lshlrev_b32_e32 v33, 3, v15
	v_add3_u32 v15, v15, v33, 0xfd7046c5
	v_lshrrev_b32_e32 v33, 16, v15
	v_xor3_b32 v15, v15, v33, 0xb55a4f09
	v_mul_hi_u32 v33, v15, 3
	v_sub_nc_u32_e32 v34, v15, v33
	v_lshrrev_b32_e32 v34, 1, v34
	v_add_nc_u32_e32 v33, v34, v33
	v_lshrrev_b32_e32 v33, 30, v33
	v_mul_lo_u32 v33, 0x7fffffff, v33
	v_sub_nc_u32_e32 v15, v15, v33
	v_max_u32_e32 v33, 1, v15
	v_mov_b32_e32 v15, 0
.LBB35_174:                             ; =>This Inner Loop Header: Depth=1
	v_mul_hi_u32 v34, 0xbc8f1391, v33
	s_add_i32 s20, s20, -2
	s_cmp_lg_u32 s20, 0
	v_lshrrev_b32_e32 v34, 15, v34
	v_mul_u32_u24_e32 v35, 0xadc8, v34
	v_mul_u32_u24_e32 v34, 0xd47, v34
	v_sub_nc_u32_e32 v33, v33, v35
	v_xor_b32_e32 v35, 0x7fffffff, v34
	v_sub_nc_u32_e32 v36, 0, v34
	v_mul_lo_u32 v33, 0xbc8f, v33
	v_cmp_lt_u32_e32 vcc_lo, v33, v34
	v_cndmask_b32_e32 v34, v36, v35, vcc_lo
	v_add_nc_u32_e32 v33, v34, v33
	v_mul_hi_u32 v34, 0xbc8f1391, v33
	v_lshrrev_b32_e32 v34, 15, v34
	v_mul_u32_u24_e32 v35, 0xadc8, v34
	v_mul_u32_u24_e32 v34, 0xd47, v34
	v_sub_nc_u32_e32 v35, v33, v35
	v_xor_b32_e32 v36, 0x7fffffff, v34
	v_sub_nc_u32_e32 v37, 0, v34
	v_add_nc_u32_e32 v33, -1, v33
	v_mul_lo_u32 v35, 0xbc8f, v35
	v_cvt_f32_u32_e32 v33, v33
	v_cmp_lt_u32_e32 vcc_lo, v35, v34
	v_cndmask_b32_e32 v34, v37, v36, vcc_lo
	v_add_nc_u32_e32 v34, v34, v35
	v_mul_hi_u32 v35, 0xbc8f1391, v34
	v_lshrrev_b32_e32 v35, 15, v35
	v_mul_u32_u24_e32 v36, 0xadc8, v35
	v_mul_u32_u24_e32 v35, 0xd47, v35
	v_sub_nc_u32_e32 v36, v34, v36
	v_xor_b32_e32 v37, 0x7fffffff, v35
	v_sub_nc_u32_e32 v38, 0, v35
	v_add_nc_u32_e32 v34, -1, v34
	v_mul_lo_u32 v36, 0xbc8f, v36
	v_cvt_f32_u32_e32 v34, v34
	v_fma_f32 v34, 0x30000000, v34, 0
	v_cmp_lt_u32_e32 vcc_lo, v36, v35
	v_mul_f32_e32 v34, v34, v34
	v_cndmask_b32_e32 v35, v38, v37, vcc_lo
	v_fma_f32 v37, 0x30000000, v33, 0
	v_add_nc_u32_e32 v35, v35, v36
	v_fmac_f32_e32 v34, v37, v37
	v_mul_hi_u32 v36, 0xbc8f1391, v35
	v_mul_f32_e32 v37, 0x4f800000, v34
	v_lshrrev_b32_e32 v33, 15, v36
	v_mul_u32_u24_e32 v36, 0xadc8, v33
	v_mul_u32_u24_e32 v33, 0xd47, v33
	v_sub_nc_u32_e32 v36, v35, v36
	v_xor_b32_e32 v38, 0x7fffffff, v33
	v_sub_nc_u32_e32 v39, 0, v33
	v_add_nc_u32_e32 v35, -1, v35
	v_mul_lo_u32 v36, 0xbc8f, v36
	v_cvt_f32_u32_e32 v35, v35
	v_fma_f32 v35, 0x30000000, v35, 0
	v_cmp_lt_u32_e32 vcc_lo, v36, v33
	v_cndmask_b32_e32 v33, v39, v38, vcc_lo
	v_cmp_gt_f32_e32 vcc_lo, 0xf800000, v34
	v_add_f32_e32 v38, 1.0, v15
	v_add_nc_u32_e32 v33, v33, v36
	v_cndmask_b32_e32 v34, v34, v37, vcc_lo
	v_add_nc_u32_e32 v36, -1, v33
	v_cvt_f32_u32_e32 v36, v36
	v_fma_f32 v36, 0x30000000, v36, 0
	v_mul_f32_e32 v36, v36, v36
	v_fmac_f32_e32 v36, v35, v35
	v_sqrt_f32_e32 v35, v34
	v_mul_f32_e32 v37, 0x4f800000, v36
	v_cmp_gt_f32_e64 s17, 0xf800000, v36
	v_cndmask_b32_e64 v36, v36, v37, s17
	v_add_nc_u32_e32 v37, -1, v35
	v_add_nc_u32_e32 v39, 1, v35
	v_sqrt_f32_e32 v40, v36
	v_fma_f32 v41, -v37, v35, v34
	v_fma_f32 v42, -v39, v35, v34
	v_cmp_ge_f32_e64 s18, 0, v41
	v_cndmask_b32_e64 v35, v35, v37, s18
	v_cmp_lt_f32_e64 s18, 0, v42
	v_add_nc_u32_e32 v37, -1, v40
	v_cndmask_b32_e64 v35, v35, v39, s18
	v_add_nc_u32_e32 v39, 1, v40
	v_fma_f32 v41, -v37, v40, v36
	v_mul_f32_e32 v42, 0x37800000, v35
	v_fma_f32 v43, -v39, v40, v36
	v_cmp_ge_f32_e64 s18, 0, v41
	v_cndmask_b32_e32 v35, v35, v42, vcc_lo
	v_cmp_class_f32_e64 vcc_lo, v34, 0x260
	v_cndmask_b32_e64 v37, v40, v37, s18
	v_cmp_lt_f32_e64 s18, 0, v43
	v_cndmask_b32_e32 v34, v35, v34, vcc_lo
	v_cndmask_b32_e64 v37, v37, v39, s18
	v_cmp_nge_f32_e32 vcc_lo, 1.0, v34
	v_mul_f32_e32 v35, 0x37800000, v37
	v_cndmask_b32_e32 v15, v38, v15, vcc_lo
	v_cmp_class_f32_e64 vcc_lo, v36, 0x260
	v_cndmask_b32_e64 v34, v37, v35, s17
	v_add_f32_e32 v35, 1.0, v15
	v_cndmask_b32_e32 v34, v34, v36, vcc_lo
	v_cmp_nge_f32_e32 vcc_lo, 1.0, v34
	v_cndmask_b32_e32 v15, v35, v15, vcc_lo
	s_cbranch_scc1 .LBB35_174
; %bb.175:
	v_mul_f32_e32 v15, 4.0, v15
	v_div_scale_f32 v33, null, 0x461c4000, 0x461c4000, v15
	v_rcp_f32_e32 v34, v33
	v_fma_f32 v35, -v33, v34, 1.0
	v_fmac_f32_e32 v34, v35, v34
	v_div_scale_f32 v35, vcc_lo, v15, 0x461c4000, v15
	v_mul_f32_e32 v36, v35, v34
	v_fma_f32 v37, -v33, v36, v35
	v_fmac_f32_e32 v36, v37, v34
	v_fma_f32 v33, -v33, v36, v35
	v_div_fmas_f32 v33, v33, v34, v36
	v_div_fixup_f32 v15, v33, 0x461c4000, v15
.LBB35_176:
	s_or_b32 exec_lo, exec_lo, s19
	v_or_b32_e32 v33, 0xe00, v0
	v_cmp_gt_u32_e64 s17, s45, v33
	s_and_saveexec_b32 s20, s17
	s_cbranch_execz .LBB35_180
; %bb.177:
	v_add_nc_u32_e32 v16, s37, v33
	s_movk_i32 s21, 0x2710
	v_lshlrev_b32_e32 v33, 12, v16
	v_add3_u32 v16, v16, v33, 0x7ed55d16
	v_lshrrev_b32_e32 v33, 19, v16
	v_xor3_b32 v16, v16, v33, 0xc761c23c
	v_lshl_add_u32 v16, v16, 5, v16
	v_add_nc_u32_e32 v33, 0xe9f8cc1d, v16
	v_lshl_add_u32 v16, v16, 9, 0xaccf6200
	v_xor_b32_e32 v16, v33, v16
	v_lshlrev_b32_e32 v33, 3, v16
	v_add3_u32 v16, v16, v33, 0xfd7046c5
	v_lshrrev_b32_e32 v33, 16, v16
	v_xor3_b32 v16, v16, v33, 0xb55a4f09
	v_mul_hi_u32 v33, v16, 3
	v_sub_nc_u32_e32 v34, v16, v33
	v_lshrrev_b32_e32 v34, 1, v34
	v_add_nc_u32_e32 v33, v34, v33
	v_lshrrev_b32_e32 v33, 30, v33
	v_mul_lo_u32 v33, 0x7fffffff, v33
	v_sub_nc_u32_e32 v16, v16, v33
	v_max_u32_e32 v33, 1, v16
	v_mov_b32_e32 v16, 0
.LBB35_178:                             ; =>This Inner Loop Header: Depth=1
	v_mul_hi_u32 v34, 0xbc8f1391, v33
	s_add_i32 s21, s21, -2
	s_cmp_lg_u32 s21, 0
	v_lshrrev_b32_e32 v34, 15, v34
	v_mul_u32_u24_e32 v35, 0xadc8, v34
	v_mul_u32_u24_e32 v34, 0xd47, v34
	v_sub_nc_u32_e32 v33, v33, v35
	v_xor_b32_e32 v35, 0x7fffffff, v34
	v_sub_nc_u32_e32 v36, 0, v34
	v_mul_lo_u32 v33, 0xbc8f, v33
	v_cmp_lt_u32_e32 vcc_lo, v33, v34
	v_cndmask_b32_e32 v34, v36, v35, vcc_lo
	v_add_nc_u32_e32 v33, v34, v33
	v_mul_hi_u32 v34, 0xbc8f1391, v33
	v_lshrrev_b32_e32 v34, 15, v34
	v_mul_u32_u24_e32 v35, 0xadc8, v34
	v_mul_u32_u24_e32 v34, 0xd47, v34
	v_sub_nc_u32_e32 v35, v33, v35
	v_xor_b32_e32 v36, 0x7fffffff, v34
	v_sub_nc_u32_e32 v37, 0, v34
	v_add_nc_u32_e32 v33, -1, v33
	v_mul_lo_u32 v35, 0xbc8f, v35
	v_cvt_f32_u32_e32 v33, v33
	v_cmp_lt_u32_e32 vcc_lo, v35, v34
	v_cndmask_b32_e32 v34, v37, v36, vcc_lo
	v_add_nc_u32_e32 v34, v34, v35
	v_mul_hi_u32 v35, 0xbc8f1391, v34
	v_lshrrev_b32_e32 v35, 15, v35
	v_mul_u32_u24_e32 v36, 0xadc8, v35
	v_mul_u32_u24_e32 v35, 0xd47, v35
	v_sub_nc_u32_e32 v36, v34, v36
	v_xor_b32_e32 v37, 0x7fffffff, v35
	v_sub_nc_u32_e32 v38, 0, v35
	v_add_nc_u32_e32 v34, -1, v34
	v_mul_lo_u32 v36, 0xbc8f, v36
	v_cvt_f32_u32_e32 v34, v34
	v_fma_f32 v34, 0x30000000, v34, 0
	v_cmp_lt_u32_e32 vcc_lo, v36, v35
	v_mul_f32_e32 v34, v34, v34
	v_cndmask_b32_e32 v35, v38, v37, vcc_lo
	v_fma_f32 v37, 0x30000000, v33, 0
	v_add_nc_u32_e32 v35, v35, v36
	v_fmac_f32_e32 v34, v37, v37
	v_mul_hi_u32 v36, 0xbc8f1391, v35
	v_mul_f32_e32 v37, 0x4f800000, v34
	v_lshrrev_b32_e32 v33, 15, v36
	v_mul_u32_u24_e32 v36, 0xadc8, v33
	v_mul_u32_u24_e32 v33, 0xd47, v33
	v_sub_nc_u32_e32 v36, v35, v36
	v_xor_b32_e32 v38, 0x7fffffff, v33
	v_sub_nc_u32_e32 v39, 0, v33
	v_add_nc_u32_e32 v35, -1, v35
	v_mul_lo_u32 v36, 0xbc8f, v36
	v_cvt_f32_u32_e32 v35, v35
	v_fma_f32 v35, 0x30000000, v35, 0
	v_cmp_lt_u32_e32 vcc_lo, v36, v33
	v_cndmask_b32_e32 v33, v39, v38, vcc_lo
	v_cmp_gt_f32_e32 vcc_lo, 0xf800000, v34
	v_add_f32_e32 v38, 1.0, v16
	v_add_nc_u32_e32 v33, v33, v36
	v_cndmask_b32_e32 v34, v34, v37, vcc_lo
	v_add_nc_u32_e32 v36, -1, v33
	v_cvt_f32_u32_e32 v36, v36
	v_fma_f32 v36, 0x30000000, v36, 0
	v_mul_f32_e32 v36, v36, v36
	v_fmac_f32_e32 v36, v35, v35
	v_sqrt_f32_e32 v35, v34
	v_mul_f32_e32 v37, 0x4f800000, v36
	v_cmp_gt_f32_e64 s18, 0xf800000, v36
	v_cndmask_b32_e64 v36, v36, v37, s18
	v_add_nc_u32_e32 v37, -1, v35
	v_add_nc_u32_e32 v39, 1, v35
	v_sqrt_f32_e32 v40, v36
	v_fma_f32 v41, -v37, v35, v34
	v_fma_f32 v42, -v39, v35, v34
	v_cmp_ge_f32_e64 s19, 0, v41
	v_cndmask_b32_e64 v35, v35, v37, s19
	v_cmp_lt_f32_e64 s19, 0, v42
	v_add_nc_u32_e32 v37, -1, v40
	v_cndmask_b32_e64 v35, v35, v39, s19
	v_add_nc_u32_e32 v39, 1, v40
	v_fma_f32 v41, -v37, v40, v36
	v_mul_f32_e32 v42, 0x37800000, v35
	v_fma_f32 v43, -v39, v40, v36
	v_cmp_ge_f32_e64 s19, 0, v41
	v_cndmask_b32_e32 v35, v35, v42, vcc_lo
	v_cmp_class_f32_e64 vcc_lo, v34, 0x260
	v_cndmask_b32_e64 v37, v40, v37, s19
	v_cmp_lt_f32_e64 s19, 0, v43
	v_cndmask_b32_e32 v34, v35, v34, vcc_lo
	v_cndmask_b32_e64 v37, v37, v39, s19
	v_cmp_nge_f32_e32 vcc_lo, 1.0, v34
	v_mul_f32_e32 v35, 0x37800000, v37
	v_cndmask_b32_e32 v16, v38, v16, vcc_lo
	v_cmp_class_f32_e64 vcc_lo, v36, 0x260
	v_cndmask_b32_e64 v34, v37, v35, s18
	v_add_f32_e32 v35, 1.0, v16
	v_cndmask_b32_e32 v34, v34, v36, vcc_lo
	v_cmp_nge_f32_e32 vcc_lo, 1.0, v34
	v_cndmask_b32_e32 v16, v35, v16, vcc_lo
	s_cbranch_scc1 .LBB35_178
; %bb.179:
	v_mul_f32_e32 v16, 4.0, v16
	v_div_scale_f32 v33, null, 0x461c4000, 0x461c4000, v16
	v_rcp_f32_e32 v34, v33
	v_fma_f32 v35, -v33, v34, 1.0
	v_fmac_f32_e32 v34, v35, v34
	v_div_scale_f32 v35, vcc_lo, v16, 0x461c4000, v16
	v_mul_f32_e32 v36, v35, v34
	v_fma_f32 v37, -v33, v36, v35
	v_fmac_f32_e32 v36, v37, v34
	v_fma_f32 v33, -v33, v36, v35
	v_div_fmas_f32 v33, v33, v34, v36
	v_div_fixup_f32 v16, v33, 0x461c4000, v16
.LBB35_180:
	s_or_b32 exec_lo, exec_lo, s20
	v_or_b32_e32 v33, 0xf00, v0
	v_cmp_gt_u32_e64 s18, s45, v33
	s_and_saveexec_b32 s21, s18
	s_cbranch_execz .LBB35_184
; %bb.181:
	v_add_nc_u32_e32 v17, s37, v33
	s_movk_i32 s22, 0x2710
	v_lshlrev_b32_e32 v33, 12, v17
	v_add3_u32 v17, v17, v33, 0x7ed55d16
	v_lshrrev_b32_e32 v33, 19, v17
	v_xor3_b32 v17, v17, v33, 0xc761c23c
	v_lshl_add_u32 v17, v17, 5, v17
	v_add_nc_u32_e32 v33, 0xe9f8cc1d, v17
	v_lshl_add_u32 v17, v17, 9, 0xaccf6200
	v_xor_b32_e32 v17, v33, v17
	v_lshlrev_b32_e32 v33, 3, v17
	v_add3_u32 v17, v17, v33, 0xfd7046c5
	v_lshrrev_b32_e32 v33, 16, v17
	v_xor3_b32 v17, v17, v33, 0xb55a4f09
	v_mul_hi_u32 v33, v17, 3
	v_sub_nc_u32_e32 v34, v17, v33
	v_lshrrev_b32_e32 v34, 1, v34
	v_add_nc_u32_e32 v33, v34, v33
	v_lshrrev_b32_e32 v33, 30, v33
	v_mul_lo_u32 v33, 0x7fffffff, v33
	v_sub_nc_u32_e32 v17, v17, v33
	v_max_u32_e32 v33, 1, v17
	v_mov_b32_e32 v17, 0
.LBB35_182:                             ; =>This Inner Loop Header: Depth=1
	v_mul_hi_u32 v34, 0xbc8f1391, v33
	s_add_i32 s22, s22, -2
	s_cmp_lg_u32 s22, 0
	v_lshrrev_b32_e32 v34, 15, v34
	v_mul_u32_u24_e32 v35, 0xadc8, v34
	v_mul_u32_u24_e32 v34, 0xd47, v34
	v_sub_nc_u32_e32 v33, v33, v35
	v_xor_b32_e32 v35, 0x7fffffff, v34
	v_sub_nc_u32_e32 v36, 0, v34
	v_mul_lo_u32 v33, 0xbc8f, v33
	v_cmp_lt_u32_e32 vcc_lo, v33, v34
	v_cndmask_b32_e32 v34, v36, v35, vcc_lo
	v_add_nc_u32_e32 v33, v34, v33
	v_mul_hi_u32 v34, 0xbc8f1391, v33
	v_lshrrev_b32_e32 v34, 15, v34
	v_mul_u32_u24_e32 v35, 0xadc8, v34
	v_mul_u32_u24_e32 v34, 0xd47, v34
	v_sub_nc_u32_e32 v35, v33, v35
	v_xor_b32_e32 v36, 0x7fffffff, v34
	v_sub_nc_u32_e32 v37, 0, v34
	v_add_nc_u32_e32 v33, -1, v33
	v_mul_lo_u32 v35, 0xbc8f, v35
	v_cvt_f32_u32_e32 v33, v33
	v_cmp_lt_u32_e32 vcc_lo, v35, v34
	v_cndmask_b32_e32 v34, v37, v36, vcc_lo
	v_add_nc_u32_e32 v34, v34, v35
	v_mul_hi_u32 v35, 0xbc8f1391, v34
	v_lshrrev_b32_e32 v35, 15, v35
	v_mul_u32_u24_e32 v36, 0xadc8, v35
	v_mul_u32_u24_e32 v35, 0xd47, v35
	v_sub_nc_u32_e32 v36, v34, v36
	v_xor_b32_e32 v37, 0x7fffffff, v35
	v_sub_nc_u32_e32 v38, 0, v35
	v_add_nc_u32_e32 v34, -1, v34
	v_mul_lo_u32 v36, 0xbc8f, v36
	v_cvt_f32_u32_e32 v34, v34
	v_fma_f32 v34, 0x30000000, v34, 0
	v_cmp_lt_u32_e32 vcc_lo, v36, v35
	v_mul_f32_e32 v34, v34, v34
	v_cndmask_b32_e32 v35, v38, v37, vcc_lo
	v_fma_f32 v37, 0x30000000, v33, 0
	v_add_nc_u32_e32 v35, v35, v36
	v_fmac_f32_e32 v34, v37, v37
	v_mul_hi_u32 v36, 0xbc8f1391, v35
	v_mul_f32_e32 v37, 0x4f800000, v34
	v_lshrrev_b32_e32 v33, 15, v36
	v_mul_u32_u24_e32 v36, 0xadc8, v33
	v_mul_u32_u24_e32 v33, 0xd47, v33
	v_sub_nc_u32_e32 v36, v35, v36
	v_xor_b32_e32 v38, 0x7fffffff, v33
	v_sub_nc_u32_e32 v39, 0, v33
	v_add_nc_u32_e32 v35, -1, v35
	v_mul_lo_u32 v36, 0xbc8f, v36
	v_cvt_f32_u32_e32 v35, v35
	v_fma_f32 v35, 0x30000000, v35, 0
	v_cmp_lt_u32_e32 vcc_lo, v36, v33
	v_cndmask_b32_e32 v33, v39, v38, vcc_lo
	v_cmp_gt_f32_e32 vcc_lo, 0xf800000, v34
	v_add_f32_e32 v38, 1.0, v17
	v_add_nc_u32_e32 v33, v33, v36
	v_cndmask_b32_e32 v34, v34, v37, vcc_lo
	v_add_nc_u32_e32 v36, -1, v33
	v_cvt_f32_u32_e32 v36, v36
	v_fma_f32 v36, 0x30000000, v36, 0
	v_mul_f32_e32 v36, v36, v36
	v_fmac_f32_e32 v36, v35, v35
	v_sqrt_f32_e32 v35, v34
	v_mul_f32_e32 v37, 0x4f800000, v36
	v_cmp_gt_f32_e64 s19, 0xf800000, v36
	v_cndmask_b32_e64 v36, v36, v37, s19
	v_add_nc_u32_e32 v37, -1, v35
	v_add_nc_u32_e32 v39, 1, v35
	v_sqrt_f32_e32 v40, v36
	v_fma_f32 v41, -v37, v35, v34
	v_fma_f32 v42, -v39, v35, v34
	v_cmp_ge_f32_e64 s20, 0, v41
	v_cndmask_b32_e64 v35, v35, v37, s20
	v_cmp_lt_f32_e64 s20, 0, v42
	v_add_nc_u32_e32 v37, -1, v40
	v_cndmask_b32_e64 v35, v35, v39, s20
	v_add_nc_u32_e32 v39, 1, v40
	v_fma_f32 v41, -v37, v40, v36
	v_mul_f32_e32 v42, 0x37800000, v35
	v_fma_f32 v43, -v39, v40, v36
	v_cmp_ge_f32_e64 s20, 0, v41
	v_cndmask_b32_e32 v35, v35, v42, vcc_lo
	v_cmp_class_f32_e64 vcc_lo, v34, 0x260
	v_cndmask_b32_e64 v37, v40, v37, s20
	v_cmp_lt_f32_e64 s20, 0, v43
	v_cndmask_b32_e32 v34, v35, v34, vcc_lo
	v_cndmask_b32_e64 v37, v37, v39, s20
	v_cmp_nge_f32_e32 vcc_lo, 1.0, v34
	v_mul_f32_e32 v35, 0x37800000, v37
	v_cndmask_b32_e32 v17, v38, v17, vcc_lo
	v_cmp_class_f32_e64 vcc_lo, v36, 0x260
	v_cndmask_b32_e64 v34, v37, v35, s19
	v_add_f32_e32 v35, 1.0, v17
	v_cndmask_b32_e32 v34, v34, v36, vcc_lo
	v_cmp_nge_f32_e32 vcc_lo, 1.0, v34
	v_cndmask_b32_e32 v17, v35, v17, vcc_lo
	s_cbranch_scc1 .LBB35_182
; %bb.183:
	v_mul_f32_e32 v17, 4.0, v17
	v_div_scale_f32 v33, null, 0x461c4000, 0x461c4000, v17
	v_rcp_f32_e32 v34, v33
	v_fma_f32 v35, -v33, v34, 1.0
	v_fmac_f32_e32 v34, v35, v34
	v_div_scale_f32 v35, vcc_lo, v17, 0x461c4000, v17
	v_mul_f32_e32 v36, v35, v34
	v_fma_f32 v37, -v33, v36, v35
	v_fmac_f32_e32 v36, v37, v34
	v_fma_f32 v33, -v33, v36, v35
	v_div_fmas_f32 v33, v33, v34, v36
	v_div_fixup_f32 v17, v33, 0x461c4000, v17
.LBB35_184:
	s_or_b32 exec_lo, exec_lo, s21
	v_or_b32_e32 v33, 0x1000, v0
	v_cmp_gt_u32_e64 s19, s45, v33
	s_and_saveexec_b32 s22, s19
	s_cbranch_execz .LBB35_188
; %bb.185:
	v_add_nc_u32_e32 v18, s37, v33
	s_movk_i32 s23, 0x2710
	v_lshlrev_b32_e32 v33, 12, v18
	v_add3_u32 v18, v18, v33, 0x7ed55d16
	v_lshrrev_b32_e32 v33, 19, v18
	v_xor3_b32 v18, v18, v33, 0xc761c23c
	v_lshl_add_u32 v18, v18, 5, v18
	v_add_nc_u32_e32 v33, 0xe9f8cc1d, v18
	v_lshl_add_u32 v18, v18, 9, 0xaccf6200
	v_xor_b32_e32 v18, v33, v18
	v_lshlrev_b32_e32 v33, 3, v18
	v_add3_u32 v18, v18, v33, 0xfd7046c5
	v_lshrrev_b32_e32 v33, 16, v18
	v_xor3_b32 v18, v18, v33, 0xb55a4f09
	v_mul_hi_u32 v33, v18, 3
	v_sub_nc_u32_e32 v34, v18, v33
	v_lshrrev_b32_e32 v34, 1, v34
	v_add_nc_u32_e32 v33, v34, v33
	v_lshrrev_b32_e32 v33, 30, v33
	v_mul_lo_u32 v33, 0x7fffffff, v33
	v_sub_nc_u32_e32 v18, v18, v33
	v_max_u32_e32 v33, 1, v18
	v_mov_b32_e32 v18, 0
.LBB35_186:                             ; =>This Inner Loop Header: Depth=1
	v_mul_hi_u32 v34, 0xbc8f1391, v33
	s_add_i32 s23, s23, -2
	s_cmp_lg_u32 s23, 0
	v_lshrrev_b32_e32 v34, 15, v34
	v_mul_u32_u24_e32 v35, 0xadc8, v34
	v_mul_u32_u24_e32 v34, 0xd47, v34
	v_sub_nc_u32_e32 v33, v33, v35
	v_xor_b32_e32 v35, 0x7fffffff, v34
	v_sub_nc_u32_e32 v36, 0, v34
	v_mul_lo_u32 v33, 0xbc8f, v33
	v_cmp_lt_u32_e32 vcc_lo, v33, v34
	v_cndmask_b32_e32 v34, v36, v35, vcc_lo
	v_add_nc_u32_e32 v33, v34, v33
	v_mul_hi_u32 v34, 0xbc8f1391, v33
	v_lshrrev_b32_e32 v34, 15, v34
	v_mul_u32_u24_e32 v35, 0xadc8, v34
	v_mul_u32_u24_e32 v34, 0xd47, v34
	v_sub_nc_u32_e32 v35, v33, v35
	v_xor_b32_e32 v36, 0x7fffffff, v34
	v_sub_nc_u32_e32 v37, 0, v34
	v_add_nc_u32_e32 v33, -1, v33
	v_mul_lo_u32 v35, 0xbc8f, v35
	v_cvt_f32_u32_e32 v33, v33
	v_cmp_lt_u32_e32 vcc_lo, v35, v34
	v_cndmask_b32_e32 v34, v37, v36, vcc_lo
	v_add_nc_u32_e32 v34, v34, v35
	v_mul_hi_u32 v35, 0xbc8f1391, v34
	v_lshrrev_b32_e32 v35, 15, v35
	v_mul_u32_u24_e32 v36, 0xadc8, v35
	v_mul_u32_u24_e32 v35, 0xd47, v35
	v_sub_nc_u32_e32 v36, v34, v36
	v_xor_b32_e32 v37, 0x7fffffff, v35
	v_sub_nc_u32_e32 v38, 0, v35
	v_add_nc_u32_e32 v34, -1, v34
	v_mul_lo_u32 v36, 0xbc8f, v36
	v_cvt_f32_u32_e32 v34, v34
	v_fma_f32 v34, 0x30000000, v34, 0
	v_cmp_lt_u32_e32 vcc_lo, v36, v35
	v_mul_f32_e32 v34, v34, v34
	v_cndmask_b32_e32 v35, v38, v37, vcc_lo
	v_fma_f32 v37, 0x30000000, v33, 0
	v_add_nc_u32_e32 v35, v35, v36
	v_fmac_f32_e32 v34, v37, v37
	v_mul_hi_u32 v36, 0xbc8f1391, v35
	v_mul_f32_e32 v37, 0x4f800000, v34
	v_lshrrev_b32_e32 v33, 15, v36
	v_mul_u32_u24_e32 v36, 0xadc8, v33
	v_mul_u32_u24_e32 v33, 0xd47, v33
	v_sub_nc_u32_e32 v36, v35, v36
	v_xor_b32_e32 v38, 0x7fffffff, v33
	v_sub_nc_u32_e32 v39, 0, v33
	v_add_nc_u32_e32 v35, -1, v35
	v_mul_lo_u32 v36, 0xbc8f, v36
	v_cvt_f32_u32_e32 v35, v35
	v_fma_f32 v35, 0x30000000, v35, 0
	v_cmp_lt_u32_e32 vcc_lo, v36, v33
	v_cndmask_b32_e32 v33, v39, v38, vcc_lo
	v_cmp_gt_f32_e32 vcc_lo, 0xf800000, v34
	v_add_f32_e32 v38, 1.0, v18
	v_add_nc_u32_e32 v33, v33, v36
	v_cndmask_b32_e32 v34, v34, v37, vcc_lo
	v_add_nc_u32_e32 v36, -1, v33
	v_cvt_f32_u32_e32 v36, v36
	v_fma_f32 v36, 0x30000000, v36, 0
	v_mul_f32_e32 v36, v36, v36
	v_fmac_f32_e32 v36, v35, v35
	v_sqrt_f32_e32 v35, v34
	v_mul_f32_e32 v37, 0x4f800000, v36
	v_cmp_gt_f32_e64 s20, 0xf800000, v36
	v_cndmask_b32_e64 v36, v36, v37, s20
	v_add_nc_u32_e32 v37, -1, v35
	v_add_nc_u32_e32 v39, 1, v35
	v_sqrt_f32_e32 v40, v36
	v_fma_f32 v41, -v37, v35, v34
	v_fma_f32 v42, -v39, v35, v34
	v_cmp_ge_f32_e64 s21, 0, v41
	v_cndmask_b32_e64 v35, v35, v37, s21
	v_cmp_lt_f32_e64 s21, 0, v42
	v_add_nc_u32_e32 v37, -1, v40
	v_cndmask_b32_e64 v35, v35, v39, s21
	v_add_nc_u32_e32 v39, 1, v40
	v_fma_f32 v41, -v37, v40, v36
	v_mul_f32_e32 v42, 0x37800000, v35
	v_fma_f32 v43, -v39, v40, v36
	v_cmp_ge_f32_e64 s21, 0, v41
	v_cndmask_b32_e32 v35, v35, v42, vcc_lo
	v_cmp_class_f32_e64 vcc_lo, v34, 0x260
	v_cndmask_b32_e64 v37, v40, v37, s21
	v_cmp_lt_f32_e64 s21, 0, v43
	v_cndmask_b32_e32 v34, v35, v34, vcc_lo
	v_cndmask_b32_e64 v37, v37, v39, s21
	v_cmp_nge_f32_e32 vcc_lo, 1.0, v34
	v_mul_f32_e32 v35, 0x37800000, v37
	v_cndmask_b32_e32 v18, v38, v18, vcc_lo
	v_cmp_class_f32_e64 vcc_lo, v36, 0x260
	v_cndmask_b32_e64 v34, v37, v35, s20
	v_add_f32_e32 v35, 1.0, v18
	v_cndmask_b32_e32 v34, v34, v36, vcc_lo
	v_cmp_nge_f32_e32 vcc_lo, 1.0, v34
	v_cndmask_b32_e32 v18, v35, v18, vcc_lo
	s_cbranch_scc1 .LBB35_186
; %bb.187:
	v_mul_f32_e32 v18, 4.0, v18
	v_div_scale_f32 v33, null, 0x461c4000, 0x461c4000, v18
	v_rcp_f32_e32 v34, v33
	v_fma_f32 v35, -v33, v34, 1.0
	v_fmac_f32_e32 v34, v35, v34
	v_div_scale_f32 v35, vcc_lo, v18, 0x461c4000, v18
	v_mul_f32_e32 v36, v35, v34
	v_fma_f32 v37, -v33, v36, v35
	v_fmac_f32_e32 v36, v37, v34
	v_fma_f32 v33, -v33, v36, v35
	v_div_fmas_f32 v33, v33, v34, v36
	v_div_fixup_f32 v18, v33, 0x461c4000, v18
.LBB35_188:
	s_or_b32 exec_lo, exec_lo, s22
	v_or_b32_e32 v33, 0x1100, v0
	v_cmp_gt_u32_e64 s20, s45, v33
	s_and_saveexec_b32 s23, s20
	s_cbranch_execz .LBB35_192
; %bb.189:
	v_add_nc_u32_e32 v19, s37, v33
	s_movk_i32 s24, 0x2710
	v_lshlrev_b32_e32 v33, 12, v19
	v_add3_u32 v19, v19, v33, 0x7ed55d16
	v_lshrrev_b32_e32 v33, 19, v19
	v_xor3_b32 v19, v19, v33, 0xc761c23c
	v_lshl_add_u32 v19, v19, 5, v19
	v_add_nc_u32_e32 v33, 0xe9f8cc1d, v19
	v_lshl_add_u32 v19, v19, 9, 0xaccf6200
	v_xor_b32_e32 v19, v33, v19
	v_lshlrev_b32_e32 v33, 3, v19
	v_add3_u32 v19, v19, v33, 0xfd7046c5
	v_lshrrev_b32_e32 v33, 16, v19
	v_xor3_b32 v19, v19, v33, 0xb55a4f09
	v_mul_hi_u32 v33, v19, 3
	v_sub_nc_u32_e32 v34, v19, v33
	v_lshrrev_b32_e32 v34, 1, v34
	v_add_nc_u32_e32 v33, v34, v33
	v_lshrrev_b32_e32 v33, 30, v33
	v_mul_lo_u32 v33, 0x7fffffff, v33
	v_sub_nc_u32_e32 v19, v19, v33
	v_max_u32_e32 v33, 1, v19
	v_mov_b32_e32 v19, 0
.LBB35_190:                             ; =>This Inner Loop Header: Depth=1
	v_mul_hi_u32 v34, 0xbc8f1391, v33
	s_add_i32 s24, s24, -2
	s_cmp_lg_u32 s24, 0
	v_lshrrev_b32_e32 v34, 15, v34
	v_mul_u32_u24_e32 v35, 0xadc8, v34
	v_mul_u32_u24_e32 v34, 0xd47, v34
	v_sub_nc_u32_e32 v33, v33, v35
	v_xor_b32_e32 v35, 0x7fffffff, v34
	v_sub_nc_u32_e32 v36, 0, v34
	v_mul_lo_u32 v33, 0xbc8f, v33
	v_cmp_lt_u32_e32 vcc_lo, v33, v34
	v_cndmask_b32_e32 v34, v36, v35, vcc_lo
	v_add_nc_u32_e32 v33, v34, v33
	v_mul_hi_u32 v34, 0xbc8f1391, v33
	v_lshrrev_b32_e32 v34, 15, v34
	v_mul_u32_u24_e32 v35, 0xadc8, v34
	v_mul_u32_u24_e32 v34, 0xd47, v34
	v_sub_nc_u32_e32 v35, v33, v35
	v_xor_b32_e32 v36, 0x7fffffff, v34
	v_sub_nc_u32_e32 v37, 0, v34
	v_add_nc_u32_e32 v33, -1, v33
	v_mul_lo_u32 v35, 0xbc8f, v35
	v_cvt_f32_u32_e32 v33, v33
	v_cmp_lt_u32_e32 vcc_lo, v35, v34
	v_cndmask_b32_e32 v34, v37, v36, vcc_lo
	v_add_nc_u32_e32 v34, v34, v35
	v_mul_hi_u32 v35, 0xbc8f1391, v34
	v_lshrrev_b32_e32 v35, 15, v35
	v_mul_u32_u24_e32 v36, 0xadc8, v35
	v_mul_u32_u24_e32 v35, 0xd47, v35
	v_sub_nc_u32_e32 v36, v34, v36
	v_xor_b32_e32 v37, 0x7fffffff, v35
	v_sub_nc_u32_e32 v38, 0, v35
	v_add_nc_u32_e32 v34, -1, v34
	v_mul_lo_u32 v36, 0xbc8f, v36
	v_cvt_f32_u32_e32 v34, v34
	v_fma_f32 v34, 0x30000000, v34, 0
	v_cmp_lt_u32_e32 vcc_lo, v36, v35
	v_mul_f32_e32 v34, v34, v34
	v_cndmask_b32_e32 v35, v38, v37, vcc_lo
	v_fma_f32 v37, 0x30000000, v33, 0
	v_add_nc_u32_e32 v35, v35, v36
	v_fmac_f32_e32 v34, v37, v37
	v_mul_hi_u32 v36, 0xbc8f1391, v35
	v_mul_f32_e32 v37, 0x4f800000, v34
	v_lshrrev_b32_e32 v33, 15, v36
	v_mul_u32_u24_e32 v36, 0xadc8, v33
	v_mul_u32_u24_e32 v33, 0xd47, v33
	v_sub_nc_u32_e32 v36, v35, v36
	v_xor_b32_e32 v38, 0x7fffffff, v33
	v_sub_nc_u32_e32 v39, 0, v33
	v_add_nc_u32_e32 v35, -1, v35
	v_mul_lo_u32 v36, 0xbc8f, v36
	v_cvt_f32_u32_e32 v35, v35
	v_fma_f32 v35, 0x30000000, v35, 0
	v_cmp_lt_u32_e32 vcc_lo, v36, v33
	v_cndmask_b32_e32 v33, v39, v38, vcc_lo
	v_cmp_gt_f32_e32 vcc_lo, 0xf800000, v34
	v_add_f32_e32 v38, 1.0, v19
	v_add_nc_u32_e32 v33, v33, v36
	v_cndmask_b32_e32 v34, v34, v37, vcc_lo
	v_add_nc_u32_e32 v36, -1, v33
	v_cvt_f32_u32_e32 v36, v36
	v_fma_f32 v36, 0x30000000, v36, 0
	v_mul_f32_e32 v36, v36, v36
	v_fmac_f32_e32 v36, v35, v35
	v_sqrt_f32_e32 v35, v34
	v_mul_f32_e32 v37, 0x4f800000, v36
	v_cmp_gt_f32_e64 s21, 0xf800000, v36
	v_cndmask_b32_e64 v36, v36, v37, s21
	v_add_nc_u32_e32 v37, -1, v35
	v_add_nc_u32_e32 v39, 1, v35
	v_sqrt_f32_e32 v40, v36
	v_fma_f32 v41, -v37, v35, v34
	v_fma_f32 v42, -v39, v35, v34
	v_cmp_ge_f32_e64 s22, 0, v41
	v_cndmask_b32_e64 v35, v35, v37, s22
	v_cmp_lt_f32_e64 s22, 0, v42
	v_add_nc_u32_e32 v37, -1, v40
	v_cndmask_b32_e64 v35, v35, v39, s22
	v_add_nc_u32_e32 v39, 1, v40
	v_fma_f32 v41, -v37, v40, v36
	v_mul_f32_e32 v42, 0x37800000, v35
	v_fma_f32 v43, -v39, v40, v36
	v_cmp_ge_f32_e64 s22, 0, v41
	v_cndmask_b32_e32 v35, v35, v42, vcc_lo
	v_cmp_class_f32_e64 vcc_lo, v34, 0x260
	v_cndmask_b32_e64 v37, v40, v37, s22
	v_cmp_lt_f32_e64 s22, 0, v43
	v_cndmask_b32_e32 v34, v35, v34, vcc_lo
	v_cndmask_b32_e64 v37, v37, v39, s22
	v_cmp_nge_f32_e32 vcc_lo, 1.0, v34
	v_mul_f32_e32 v35, 0x37800000, v37
	v_cndmask_b32_e32 v19, v38, v19, vcc_lo
	v_cmp_class_f32_e64 vcc_lo, v36, 0x260
	v_cndmask_b32_e64 v34, v37, v35, s21
	v_add_f32_e32 v35, 1.0, v19
	v_cndmask_b32_e32 v34, v34, v36, vcc_lo
	v_cmp_nge_f32_e32 vcc_lo, 1.0, v34
	v_cndmask_b32_e32 v19, v35, v19, vcc_lo
	s_cbranch_scc1 .LBB35_190
; %bb.191:
	v_mul_f32_e32 v19, 4.0, v19
	v_div_scale_f32 v33, null, 0x461c4000, 0x461c4000, v19
	v_rcp_f32_e32 v34, v33
	v_fma_f32 v35, -v33, v34, 1.0
	v_fmac_f32_e32 v34, v35, v34
	v_div_scale_f32 v35, vcc_lo, v19, 0x461c4000, v19
	v_mul_f32_e32 v36, v35, v34
	v_fma_f32 v37, -v33, v36, v35
	v_fmac_f32_e32 v36, v37, v34
	v_fma_f32 v33, -v33, v36, v35
	v_div_fmas_f32 v33, v33, v34, v36
	v_div_fixup_f32 v19, v33, 0x461c4000, v19
.LBB35_192:
	s_or_b32 exec_lo, exec_lo, s23
	v_or_b32_e32 v33, 0x1200, v0
	v_cmp_gt_u32_e64 s21, s45, v33
	s_and_saveexec_b32 s24, s21
	s_cbranch_execz .LBB35_196
; %bb.193:
	v_add_nc_u32_e32 v20, s37, v33
	s_movk_i32 s25, 0x2710
	v_lshlrev_b32_e32 v33, 12, v20
	v_add3_u32 v20, v20, v33, 0x7ed55d16
	v_lshrrev_b32_e32 v33, 19, v20
	v_xor3_b32 v20, v20, v33, 0xc761c23c
	v_lshl_add_u32 v20, v20, 5, v20
	v_add_nc_u32_e32 v33, 0xe9f8cc1d, v20
	v_lshl_add_u32 v20, v20, 9, 0xaccf6200
	v_xor_b32_e32 v20, v33, v20
	v_lshlrev_b32_e32 v33, 3, v20
	v_add3_u32 v20, v20, v33, 0xfd7046c5
	v_lshrrev_b32_e32 v33, 16, v20
	v_xor3_b32 v20, v20, v33, 0xb55a4f09
	v_mul_hi_u32 v33, v20, 3
	v_sub_nc_u32_e32 v34, v20, v33
	v_lshrrev_b32_e32 v34, 1, v34
	v_add_nc_u32_e32 v33, v34, v33
	v_lshrrev_b32_e32 v33, 30, v33
	v_mul_lo_u32 v33, 0x7fffffff, v33
	v_sub_nc_u32_e32 v20, v20, v33
	v_max_u32_e32 v33, 1, v20
	v_mov_b32_e32 v20, 0
.LBB35_194:                             ; =>This Inner Loop Header: Depth=1
	v_mul_hi_u32 v34, 0xbc8f1391, v33
	s_add_i32 s25, s25, -2
	s_cmp_lg_u32 s25, 0
	v_lshrrev_b32_e32 v34, 15, v34
	v_mul_u32_u24_e32 v35, 0xadc8, v34
	v_mul_u32_u24_e32 v34, 0xd47, v34
	v_sub_nc_u32_e32 v33, v33, v35
	v_xor_b32_e32 v35, 0x7fffffff, v34
	v_sub_nc_u32_e32 v36, 0, v34
	v_mul_lo_u32 v33, 0xbc8f, v33
	v_cmp_lt_u32_e32 vcc_lo, v33, v34
	v_cndmask_b32_e32 v34, v36, v35, vcc_lo
	v_add_nc_u32_e32 v33, v34, v33
	v_mul_hi_u32 v34, 0xbc8f1391, v33
	v_lshrrev_b32_e32 v34, 15, v34
	v_mul_u32_u24_e32 v35, 0xadc8, v34
	v_mul_u32_u24_e32 v34, 0xd47, v34
	v_sub_nc_u32_e32 v35, v33, v35
	v_xor_b32_e32 v36, 0x7fffffff, v34
	v_sub_nc_u32_e32 v37, 0, v34
	v_add_nc_u32_e32 v33, -1, v33
	v_mul_lo_u32 v35, 0xbc8f, v35
	v_cvt_f32_u32_e32 v33, v33
	v_cmp_lt_u32_e32 vcc_lo, v35, v34
	v_cndmask_b32_e32 v34, v37, v36, vcc_lo
	v_add_nc_u32_e32 v34, v34, v35
	v_mul_hi_u32 v35, 0xbc8f1391, v34
	v_lshrrev_b32_e32 v35, 15, v35
	v_mul_u32_u24_e32 v36, 0xadc8, v35
	v_mul_u32_u24_e32 v35, 0xd47, v35
	v_sub_nc_u32_e32 v36, v34, v36
	v_xor_b32_e32 v37, 0x7fffffff, v35
	v_sub_nc_u32_e32 v38, 0, v35
	v_add_nc_u32_e32 v34, -1, v34
	v_mul_lo_u32 v36, 0xbc8f, v36
	v_cvt_f32_u32_e32 v34, v34
	v_fma_f32 v34, 0x30000000, v34, 0
	v_cmp_lt_u32_e32 vcc_lo, v36, v35
	v_mul_f32_e32 v34, v34, v34
	v_cndmask_b32_e32 v35, v38, v37, vcc_lo
	v_fma_f32 v37, 0x30000000, v33, 0
	v_add_nc_u32_e32 v35, v35, v36
	v_fmac_f32_e32 v34, v37, v37
	v_mul_hi_u32 v36, 0xbc8f1391, v35
	v_mul_f32_e32 v37, 0x4f800000, v34
	v_lshrrev_b32_e32 v33, 15, v36
	v_mul_u32_u24_e32 v36, 0xadc8, v33
	v_mul_u32_u24_e32 v33, 0xd47, v33
	v_sub_nc_u32_e32 v36, v35, v36
	v_xor_b32_e32 v38, 0x7fffffff, v33
	v_sub_nc_u32_e32 v39, 0, v33
	v_add_nc_u32_e32 v35, -1, v35
	v_mul_lo_u32 v36, 0xbc8f, v36
	v_cvt_f32_u32_e32 v35, v35
	v_fma_f32 v35, 0x30000000, v35, 0
	v_cmp_lt_u32_e32 vcc_lo, v36, v33
	v_cndmask_b32_e32 v33, v39, v38, vcc_lo
	v_cmp_gt_f32_e32 vcc_lo, 0xf800000, v34
	v_add_f32_e32 v38, 1.0, v20
	v_add_nc_u32_e32 v33, v33, v36
	v_cndmask_b32_e32 v34, v34, v37, vcc_lo
	v_add_nc_u32_e32 v36, -1, v33
	v_cvt_f32_u32_e32 v36, v36
	v_fma_f32 v36, 0x30000000, v36, 0
	v_mul_f32_e32 v36, v36, v36
	v_fmac_f32_e32 v36, v35, v35
	v_sqrt_f32_e32 v35, v34
	v_mul_f32_e32 v37, 0x4f800000, v36
	v_cmp_gt_f32_e64 s22, 0xf800000, v36
	v_cndmask_b32_e64 v36, v36, v37, s22
	v_add_nc_u32_e32 v37, -1, v35
	v_add_nc_u32_e32 v39, 1, v35
	v_sqrt_f32_e32 v40, v36
	v_fma_f32 v41, -v37, v35, v34
	v_fma_f32 v42, -v39, v35, v34
	v_cmp_ge_f32_e64 s23, 0, v41
	v_cndmask_b32_e64 v35, v35, v37, s23
	v_cmp_lt_f32_e64 s23, 0, v42
	v_add_nc_u32_e32 v37, -1, v40
	v_cndmask_b32_e64 v35, v35, v39, s23
	v_add_nc_u32_e32 v39, 1, v40
	v_fma_f32 v41, -v37, v40, v36
	v_mul_f32_e32 v42, 0x37800000, v35
	v_fma_f32 v43, -v39, v40, v36
	v_cmp_ge_f32_e64 s23, 0, v41
	v_cndmask_b32_e32 v35, v35, v42, vcc_lo
	v_cmp_class_f32_e64 vcc_lo, v34, 0x260
	v_cndmask_b32_e64 v37, v40, v37, s23
	v_cmp_lt_f32_e64 s23, 0, v43
	v_cndmask_b32_e32 v34, v35, v34, vcc_lo
	v_cndmask_b32_e64 v37, v37, v39, s23
	v_cmp_nge_f32_e32 vcc_lo, 1.0, v34
	v_mul_f32_e32 v35, 0x37800000, v37
	v_cndmask_b32_e32 v20, v38, v20, vcc_lo
	v_cmp_class_f32_e64 vcc_lo, v36, 0x260
	v_cndmask_b32_e64 v34, v37, v35, s22
	v_add_f32_e32 v35, 1.0, v20
	v_cndmask_b32_e32 v34, v34, v36, vcc_lo
	v_cmp_nge_f32_e32 vcc_lo, 1.0, v34
	v_cndmask_b32_e32 v20, v35, v20, vcc_lo
	s_cbranch_scc1 .LBB35_194
; %bb.195:
	v_mul_f32_e32 v20, 4.0, v20
	v_div_scale_f32 v33, null, 0x461c4000, 0x461c4000, v20
	v_rcp_f32_e32 v34, v33
	v_fma_f32 v35, -v33, v34, 1.0
	v_fmac_f32_e32 v34, v35, v34
	v_div_scale_f32 v35, vcc_lo, v20, 0x461c4000, v20
	v_mul_f32_e32 v36, v35, v34
	v_fma_f32 v37, -v33, v36, v35
	v_fmac_f32_e32 v36, v37, v34
	v_fma_f32 v33, -v33, v36, v35
	v_div_fmas_f32 v33, v33, v34, v36
	v_div_fixup_f32 v20, v33, 0x461c4000, v20
.LBB35_196:
	s_or_b32 exec_lo, exec_lo, s24
	v_or_b32_e32 v33, 0x1300, v0
	v_cmp_gt_u32_e64 s22, s45, v33
	s_and_saveexec_b32 s25, s22
	s_cbranch_execz .LBB35_200
; %bb.197:
	v_add_nc_u32_e32 v21, s37, v33
	s_movk_i32 s26, 0x2710
	v_lshlrev_b32_e32 v33, 12, v21
	v_add3_u32 v21, v21, v33, 0x7ed55d16
	v_lshrrev_b32_e32 v33, 19, v21
	v_xor3_b32 v21, v21, v33, 0xc761c23c
	v_lshl_add_u32 v21, v21, 5, v21
	v_add_nc_u32_e32 v33, 0xe9f8cc1d, v21
	v_lshl_add_u32 v21, v21, 9, 0xaccf6200
	v_xor_b32_e32 v21, v33, v21
	v_lshlrev_b32_e32 v33, 3, v21
	v_add3_u32 v21, v21, v33, 0xfd7046c5
	v_lshrrev_b32_e32 v33, 16, v21
	v_xor3_b32 v21, v21, v33, 0xb55a4f09
	v_mul_hi_u32 v33, v21, 3
	v_sub_nc_u32_e32 v34, v21, v33
	v_lshrrev_b32_e32 v34, 1, v34
	v_add_nc_u32_e32 v33, v34, v33
	v_lshrrev_b32_e32 v33, 30, v33
	v_mul_lo_u32 v33, 0x7fffffff, v33
	v_sub_nc_u32_e32 v21, v21, v33
	v_max_u32_e32 v33, 1, v21
	v_mov_b32_e32 v21, 0
.LBB35_198:                             ; =>This Inner Loop Header: Depth=1
	v_mul_hi_u32 v34, 0xbc8f1391, v33
	s_add_i32 s26, s26, -2
	s_cmp_lg_u32 s26, 0
	v_lshrrev_b32_e32 v34, 15, v34
	v_mul_u32_u24_e32 v35, 0xadc8, v34
	v_mul_u32_u24_e32 v34, 0xd47, v34
	v_sub_nc_u32_e32 v33, v33, v35
	v_xor_b32_e32 v35, 0x7fffffff, v34
	v_sub_nc_u32_e32 v36, 0, v34
	v_mul_lo_u32 v33, 0xbc8f, v33
	v_cmp_lt_u32_e32 vcc_lo, v33, v34
	v_cndmask_b32_e32 v34, v36, v35, vcc_lo
	v_add_nc_u32_e32 v33, v34, v33
	v_mul_hi_u32 v34, 0xbc8f1391, v33
	v_lshrrev_b32_e32 v34, 15, v34
	v_mul_u32_u24_e32 v35, 0xadc8, v34
	v_mul_u32_u24_e32 v34, 0xd47, v34
	v_sub_nc_u32_e32 v35, v33, v35
	v_xor_b32_e32 v36, 0x7fffffff, v34
	v_sub_nc_u32_e32 v37, 0, v34
	v_add_nc_u32_e32 v33, -1, v33
	v_mul_lo_u32 v35, 0xbc8f, v35
	v_cvt_f32_u32_e32 v33, v33
	v_cmp_lt_u32_e32 vcc_lo, v35, v34
	v_cndmask_b32_e32 v34, v37, v36, vcc_lo
	v_add_nc_u32_e32 v34, v34, v35
	v_mul_hi_u32 v35, 0xbc8f1391, v34
	v_lshrrev_b32_e32 v35, 15, v35
	v_mul_u32_u24_e32 v36, 0xadc8, v35
	v_mul_u32_u24_e32 v35, 0xd47, v35
	v_sub_nc_u32_e32 v36, v34, v36
	v_xor_b32_e32 v37, 0x7fffffff, v35
	v_sub_nc_u32_e32 v38, 0, v35
	v_add_nc_u32_e32 v34, -1, v34
	v_mul_lo_u32 v36, 0xbc8f, v36
	v_cvt_f32_u32_e32 v34, v34
	v_fma_f32 v34, 0x30000000, v34, 0
	v_cmp_lt_u32_e32 vcc_lo, v36, v35
	v_mul_f32_e32 v34, v34, v34
	v_cndmask_b32_e32 v35, v38, v37, vcc_lo
	v_fma_f32 v37, 0x30000000, v33, 0
	v_add_nc_u32_e32 v35, v35, v36
	v_fmac_f32_e32 v34, v37, v37
	v_mul_hi_u32 v36, 0xbc8f1391, v35
	v_mul_f32_e32 v37, 0x4f800000, v34
	v_lshrrev_b32_e32 v33, 15, v36
	v_mul_u32_u24_e32 v36, 0xadc8, v33
	v_mul_u32_u24_e32 v33, 0xd47, v33
	v_sub_nc_u32_e32 v36, v35, v36
	v_xor_b32_e32 v38, 0x7fffffff, v33
	v_sub_nc_u32_e32 v39, 0, v33
	v_add_nc_u32_e32 v35, -1, v35
	v_mul_lo_u32 v36, 0xbc8f, v36
	v_cvt_f32_u32_e32 v35, v35
	v_fma_f32 v35, 0x30000000, v35, 0
	v_cmp_lt_u32_e32 vcc_lo, v36, v33
	v_cndmask_b32_e32 v33, v39, v38, vcc_lo
	v_cmp_gt_f32_e32 vcc_lo, 0xf800000, v34
	v_add_f32_e32 v38, 1.0, v21
	v_add_nc_u32_e32 v33, v33, v36
	v_cndmask_b32_e32 v34, v34, v37, vcc_lo
	v_add_nc_u32_e32 v36, -1, v33
	v_cvt_f32_u32_e32 v36, v36
	v_fma_f32 v36, 0x30000000, v36, 0
	v_mul_f32_e32 v36, v36, v36
	v_fmac_f32_e32 v36, v35, v35
	v_sqrt_f32_e32 v35, v34
	v_mul_f32_e32 v37, 0x4f800000, v36
	v_cmp_gt_f32_e64 s23, 0xf800000, v36
	v_cndmask_b32_e64 v36, v36, v37, s23
	v_add_nc_u32_e32 v37, -1, v35
	v_add_nc_u32_e32 v39, 1, v35
	v_sqrt_f32_e32 v40, v36
	v_fma_f32 v41, -v37, v35, v34
	v_fma_f32 v42, -v39, v35, v34
	v_cmp_ge_f32_e64 s24, 0, v41
	v_cndmask_b32_e64 v35, v35, v37, s24
	v_cmp_lt_f32_e64 s24, 0, v42
	v_add_nc_u32_e32 v37, -1, v40
	v_cndmask_b32_e64 v35, v35, v39, s24
	v_add_nc_u32_e32 v39, 1, v40
	v_fma_f32 v41, -v37, v40, v36
	v_mul_f32_e32 v42, 0x37800000, v35
	v_fma_f32 v43, -v39, v40, v36
	v_cmp_ge_f32_e64 s24, 0, v41
	v_cndmask_b32_e32 v35, v35, v42, vcc_lo
	v_cmp_class_f32_e64 vcc_lo, v34, 0x260
	v_cndmask_b32_e64 v37, v40, v37, s24
	v_cmp_lt_f32_e64 s24, 0, v43
	v_cndmask_b32_e32 v34, v35, v34, vcc_lo
	v_cndmask_b32_e64 v37, v37, v39, s24
	v_cmp_nge_f32_e32 vcc_lo, 1.0, v34
	v_mul_f32_e32 v35, 0x37800000, v37
	v_cndmask_b32_e32 v21, v38, v21, vcc_lo
	v_cmp_class_f32_e64 vcc_lo, v36, 0x260
	v_cndmask_b32_e64 v34, v37, v35, s23
	v_add_f32_e32 v35, 1.0, v21
	v_cndmask_b32_e32 v34, v34, v36, vcc_lo
	v_cmp_nge_f32_e32 vcc_lo, 1.0, v34
	v_cndmask_b32_e32 v21, v35, v21, vcc_lo
	s_cbranch_scc1 .LBB35_198
; %bb.199:
	v_mul_f32_e32 v21, 4.0, v21
	v_div_scale_f32 v33, null, 0x461c4000, 0x461c4000, v21
	v_rcp_f32_e32 v34, v33
	v_fma_f32 v35, -v33, v34, 1.0
	v_fmac_f32_e32 v34, v35, v34
	v_div_scale_f32 v35, vcc_lo, v21, 0x461c4000, v21
	v_mul_f32_e32 v36, v35, v34
	v_fma_f32 v37, -v33, v36, v35
	v_fmac_f32_e32 v36, v37, v34
	v_fma_f32 v33, -v33, v36, v35
	v_div_fmas_f32 v33, v33, v34, v36
	v_div_fixup_f32 v21, v33, 0x461c4000, v21
.LBB35_200:
	s_or_b32 exec_lo, exec_lo, s25
	v_or_b32_e32 v33, 0x1400, v0
	v_cmp_gt_u32_e64 s23, s45, v33
	s_and_saveexec_b32 s26, s23
	s_cbranch_execz .LBB35_204
; %bb.201:
	v_add_nc_u32_e32 v22, s37, v33
	s_movk_i32 s27, 0x2710
	v_lshlrev_b32_e32 v33, 12, v22
	v_add3_u32 v22, v22, v33, 0x7ed55d16
	v_lshrrev_b32_e32 v33, 19, v22
	v_xor3_b32 v22, v22, v33, 0xc761c23c
	v_lshl_add_u32 v22, v22, 5, v22
	v_add_nc_u32_e32 v33, 0xe9f8cc1d, v22
	v_lshl_add_u32 v22, v22, 9, 0xaccf6200
	v_xor_b32_e32 v22, v33, v22
	v_lshlrev_b32_e32 v33, 3, v22
	v_add3_u32 v22, v22, v33, 0xfd7046c5
	v_lshrrev_b32_e32 v33, 16, v22
	v_xor3_b32 v22, v22, v33, 0xb55a4f09
	v_mul_hi_u32 v33, v22, 3
	v_sub_nc_u32_e32 v34, v22, v33
	v_lshrrev_b32_e32 v34, 1, v34
	v_add_nc_u32_e32 v33, v34, v33
	v_lshrrev_b32_e32 v33, 30, v33
	v_mul_lo_u32 v33, 0x7fffffff, v33
	v_sub_nc_u32_e32 v22, v22, v33
	v_max_u32_e32 v33, 1, v22
	v_mov_b32_e32 v22, 0
.LBB35_202:                             ; =>This Inner Loop Header: Depth=1
	v_mul_hi_u32 v34, 0xbc8f1391, v33
	s_add_i32 s27, s27, -2
	s_cmp_lg_u32 s27, 0
	v_lshrrev_b32_e32 v34, 15, v34
	v_mul_u32_u24_e32 v35, 0xadc8, v34
	v_mul_u32_u24_e32 v34, 0xd47, v34
	v_sub_nc_u32_e32 v33, v33, v35
	v_xor_b32_e32 v35, 0x7fffffff, v34
	v_sub_nc_u32_e32 v36, 0, v34
	v_mul_lo_u32 v33, 0xbc8f, v33
	v_cmp_lt_u32_e32 vcc_lo, v33, v34
	v_cndmask_b32_e32 v34, v36, v35, vcc_lo
	v_add_nc_u32_e32 v33, v34, v33
	v_mul_hi_u32 v34, 0xbc8f1391, v33
	v_lshrrev_b32_e32 v34, 15, v34
	v_mul_u32_u24_e32 v35, 0xadc8, v34
	v_mul_u32_u24_e32 v34, 0xd47, v34
	v_sub_nc_u32_e32 v35, v33, v35
	v_xor_b32_e32 v36, 0x7fffffff, v34
	v_sub_nc_u32_e32 v37, 0, v34
	v_add_nc_u32_e32 v33, -1, v33
	v_mul_lo_u32 v35, 0xbc8f, v35
	v_cvt_f32_u32_e32 v33, v33
	v_cmp_lt_u32_e32 vcc_lo, v35, v34
	v_cndmask_b32_e32 v34, v37, v36, vcc_lo
	v_add_nc_u32_e32 v34, v34, v35
	v_mul_hi_u32 v35, 0xbc8f1391, v34
	v_lshrrev_b32_e32 v35, 15, v35
	v_mul_u32_u24_e32 v36, 0xadc8, v35
	v_mul_u32_u24_e32 v35, 0xd47, v35
	v_sub_nc_u32_e32 v36, v34, v36
	v_xor_b32_e32 v37, 0x7fffffff, v35
	v_sub_nc_u32_e32 v38, 0, v35
	v_add_nc_u32_e32 v34, -1, v34
	v_mul_lo_u32 v36, 0xbc8f, v36
	v_cvt_f32_u32_e32 v34, v34
	v_fma_f32 v34, 0x30000000, v34, 0
	v_cmp_lt_u32_e32 vcc_lo, v36, v35
	v_mul_f32_e32 v34, v34, v34
	v_cndmask_b32_e32 v35, v38, v37, vcc_lo
	v_fma_f32 v37, 0x30000000, v33, 0
	v_add_nc_u32_e32 v35, v35, v36
	v_fmac_f32_e32 v34, v37, v37
	v_mul_hi_u32 v36, 0xbc8f1391, v35
	v_mul_f32_e32 v37, 0x4f800000, v34
	v_lshrrev_b32_e32 v33, 15, v36
	v_mul_u32_u24_e32 v36, 0xadc8, v33
	v_mul_u32_u24_e32 v33, 0xd47, v33
	v_sub_nc_u32_e32 v36, v35, v36
	v_xor_b32_e32 v38, 0x7fffffff, v33
	v_sub_nc_u32_e32 v39, 0, v33
	v_add_nc_u32_e32 v35, -1, v35
	v_mul_lo_u32 v36, 0xbc8f, v36
	v_cvt_f32_u32_e32 v35, v35
	v_fma_f32 v35, 0x30000000, v35, 0
	v_cmp_lt_u32_e32 vcc_lo, v36, v33
	v_cndmask_b32_e32 v33, v39, v38, vcc_lo
	v_cmp_gt_f32_e32 vcc_lo, 0xf800000, v34
	v_add_f32_e32 v38, 1.0, v22
	v_add_nc_u32_e32 v33, v33, v36
	v_cndmask_b32_e32 v34, v34, v37, vcc_lo
	v_add_nc_u32_e32 v36, -1, v33
	v_cvt_f32_u32_e32 v36, v36
	v_fma_f32 v36, 0x30000000, v36, 0
	v_mul_f32_e32 v36, v36, v36
	v_fmac_f32_e32 v36, v35, v35
	v_sqrt_f32_e32 v35, v34
	v_mul_f32_e32 v37, 0x4f800000, v36
	v_cmp_gt_f32_e64 s24, 0xf800000, v36
	v_cndmask_b32_e64 v36, v36, v37, s24
	v_add_nc_u32_e32 v37, -1, v35
	v_add_nc_u32_e32 v39, 1, v35
	v_sqrt_f32_e32 v40, v36
	v_fma_f32 v41, -v37, v35, v34
	v_fma_f32 v42, -v39, v35, v34
	v_cmp_ge_f32_e64 s25, 0, v41
	v_cndmask_b32_e64 v35, v35, v37, s25
	v_cmp_lt_f32_e64 s25, 0, v42
	v_add_nc_u32_e32 v37, -1, v40
	v_cndmask_b32_e64 v35, v35, v39, s25
	v_add_nc_u32_e32 v39, 1, v40
	v_fma_f32 v41, -v37, v40, v36
	v_mul_f32_e32 v42, 0x37800000, v35
	v_fma_f32 v43, -v39, v40, v36
	v_cmp_ge_f32_e64 s25, 0, v41
	v_cndmask_b32_e32 v35, v35, v42, vcc_lo
	v_cmp_class_f32_e64 vcc_lo, v34, 0x260
	v_cndmask_b32_e64 v37, v40, v37, s25
	v_cmp_lt_f32_e64 s25, 0, v43
	v_cndmask_b32_e32 v34, v35, v34, vcc_lo
	v_cndmask_b32_e64 v37, v37, v39, s25
	v_cmp_nge_f32_e32 vcc_lo, 1.0, v34
	v_mul_f32_e32 v35, 0x37800000, v37
	v_cndmask_b32_e32 v22, v38, v22, vcc_lo
	v_cmp_class_f32_e64 vcc_lo, v36, 0x260
	v_cndmask_b32_e64 v34, v37, v35, s24
	v_add_f32_e32 v35, 1.0, v22
	v_cndmask_b32_e32 v34, v34, v36, vcc_lo
	v_cmp_nge_f32_e32 vcc_lo, 1.0, v34
	v_cndmask_b32_e32 v22, v35, v22, vcc_lo
	s_cbranch_scc1 .LBB35_202
; %bb.203:
	v_mul_f32_e32 v22, 4.0, v22
	v_div_scale_f32 v33, null, 0x461c4000, 0x461c4000, v22
	v_rcp_f32_e32 v34, v33
	v_fma_f32 v35, -v33, v34, 1.0
	v_fmac_f32_e32 v34, v35, v34
	v_div_scale_f32 v35, vcc_lo, v22, 0x461c4000, v22
	v_mul_f32_e32 v36, v35, v34
	v_fma_f32 v37, -v33, v36, v35
	v_fmac_f32_e32 v36, v37, v34
	v_fma_f32 v33, -v33, v36, v35
	v_div_fmas_f32 v33, v33, v34, v36
	v_div_fixup_f32 v22, v33, 0x461c4000, v22
.LBB35_204:
	s_or_b32 exec_lo, exec_lo, s26
	v_or_b32_e32 v33, 0x1500, v0
	v_cmp_gt_u32_e64 s24, s45, v33
	s_and_saveexec_b32 s27, s24
	s_cbranch_execz .LBB35_208
; %bb.205:
	v_add_nc_u32_e32 v23, s37, v33
	s_movk_i32 s28, 0x2710
	v_lshlrev_b32_e32 v33, 12, v23
	v_add3_u32 v23, v23, v33, 0x7ed55d16
	v_lshrrev_b32_e32 v33, 19, v23
	v_xor3_b32 v23, v23, v33, 0xc761c23c
	v_lshl_add_u32 v23, v23, 5, v23
	v_add_nc_u32_e32 v33, 0xe9f8cc1d, v23
	v_lshl_add_u32 v23, v23, 9, 0xaccf6200
	v_xor_b32_e32 v23, v33, v23
	v_lshlrev_b32_e32 v33, 3, v23
	v_add3_u32 v23, v23, v33, 0xfd7046c5
	v_lshrrev_b32_e32 v33, 16, v23
	v_xor3_b32 v23, v23, v33, 0xb55a4f09
	v_mul_hi_u32 v33, v23, 3
	v_sub_nc_u32_e32 v34, v23, v33
	v_lshrrev_b32_e32 v34, 1, v34
	v_add_nc_u32_e32 v33, v34, v33
	v_lshrrev_b32_e32 v33, 30, v33
	v_mul_lo_u32 v33, 0x7fffffff, v33
	v_sub_nc_u32_e32 v23, v23, v33
	v_max_u32_e32 v33, 1, v23
	v_mov_b32_e32 v23, 0
.LBB35_206:                             ; =>This Inner Loop Header: Depth=1
	v_mul_hi_u32 v34, 0xbc8f1391, v33
	s_add_i32 s28, s28, -2
	s_cmp_lg_u32 s28, 0
	v_lshrrev_b32_e32 v34, 15, v34
	v_mul_u32_u24_e32 v35, 0xadc8, v34
	v_mul_u32_u24_e32 v34, 0xd47, v34
	v_sub_nc_u32_e32 v33, v33, v35
	v_xor_b32_e32 v35, 0x7fffffff, v34
	v_sub_nc_u32_e32 v36, 0, v34
	v_mul_lo_u32 v33, 0xbc8f, v33
	v_cmp_lt_u32_e32 vcc_lo, v33, v34
	v_cndmask_b32_e32 v34, v36, v35, vcc_lo
	v_add_nc_u32_e32 v33, v34, v33
	v_mul_hi_u32 v34, 0xbc8f1391, v33
	v_lshrrev_b32_e32 v34, 15, v34
	v_mul_u32_u24_e32 v35, 0xadc8, v34
	v_mul_u32_u24_e32 v34, 0xd47, v34
	v_sub_nc_u32_e32 v35, v33, v35
	v_xor_b32_e32 v36, 0x7fffffff, v34
	v_sub_nc_u32_e32 v37, 0, v34
	v_add_nc_u32_e32 v33, -1, v33
	v_mul_lo_u32 v35, 0xbc8f, v35
	v_cvt_f32_u32_e32 v33, v33
	v_cmp_lt_u32_e32 vcc_lo, v35, v34
	v_cndmask_b32_e32 v34, v37, v36, vcc_lo
	v_add_nc_u32_e32 v34, v34, v35
	v_mul_hi_u32 v35, 0xbc8f1391, v34
	v_lshrrev_b32_e32 v35, 15, v35
	v_mul_u32_u24_e32 v36, 0xadc8, v35
	v_mul_u32_u24_e32 v35, 0xd47, v35
	v_sub_nc_u32_e32 v36, v34, v36
	v_xor_b32_e32 v37, 0x7fffffff, v35
	v_sub_nc_u32_e32 v38, 0, v35
	v_add_nc_u32_e32 v34, -1, v34
	v_mul_lo_u32 v36, 0xbc8f, v36
	v_cvt_f32_u32_e32 v34, v34
	v_fma_f32 v34, 0x30000000, v34, 0
	v_cmp_lt_u32_e32 vcc_lo, v36, v35
	v_mul_f32_e32 v34, v34, v34
	v_cndmask_b32_e32 v35, v38, v37, vcc_lo
	v_fma_f32 v37, 0x30000000, v33, 0
	v_add_nc_u32_e32 v35, v35, v36
	v_fmac_f32_e32 v34, v37, v37
	v_mul_hi_u32 v36, 0xbc8f1391, v35
	v_mul_f32_e32 v37, 0x4f800000, v34
	v_lshrrev_b32_e32 v33, 15, v36
	v_mul_u32_u24_e32 v36, 0xadc8, v33
	v_mul_u32_u24_e32 v33, 0xd47, v33
	v_sub_nc_u32_e32 v36, v35, v36
	v_xor_b32_e32 v38, 0x7fffffff, v33
	v_sub_nc_u32_e32 v39, 0, v33
	v_add_nc_u32_e32 v35, -1, v35
	v_mul_lo_u32 v36, 0xbc8f, v36
	v_cvt_f32_u32_e32 v35, v35
	v_fma_f32 v35, 0x30000000, v35, 0
	v_cmp_lt_u32_e32 vcc_lo, v36, v33
	v_cndmask_b32_e32 v33, v39, v38, vcc_lo
	v_cmp_gt_f32_e32 vcc_lo, 0xf800000, v34
	v_add_f32_e32 v38, 1.0, v23
	v_add_nc_u32_e32 v33, v33, v36
	v_cndmask_b32_e32 v34, v34, v37, vcc_lo
	v_add_nc_u32_e32 v36, -1, v33
	v_cvt_f32_u32_e32 v36, v36
	v_fma_f32 v36, 0x30000000, v36, 0
	v_mul_f32_e32 v36, v36, v36
	v_fmac_f32_e32 v36, v35, v35
	v_sqrt_f32_e32 v35, v34
	v_mul_f32_e32 v37, 0x4f800000, v36
	v_cmp_gt_f32_e64 s25, 0xf800000, v36
	v_cndmask_b32_e64 v36, v36, v37, s25
	v_add_nc_u32_e32 v37, -1, v35
	v_add_nc_u32_e32 v39, 1, v35
	v_sqrt_f32_e32 v40, v36
	v_fma_f32 v41, -v37, v35, v34
	v_fma_f32 v42, -v39, v35, v34
	v_cmp_ge_f32_e64 s26, 0, v41
	v_cndmask_b32_e64 v35, v35, v37, s26
	v_cmp_lt_f32_e64 s26, 0, v42
	v_add_nc_u32_e32 v37, -1, v40
	v_cndmask_b32_e64 v35, v35, v39, s26
	v_add_nc_u32_e32 v39, 1, v40
	v_fma_f32 v41, -v37, v40, v36
	v_mul_f32_e32 v42, 0x37800000, v35
	v_fma_f32 v43, -v39, v40, v36
	v_cmp_ge_f32_e64 s26, 0, v41
	v_cndmask_b32_e32 v35, v35, v42, vcc_lo
	v_cmp_class_f32_e64 vcc_lo, v34, 0x260
	v_cndmask_b32_e64 v37, v40, v37, s26
	v_cmp_lt_f32_e64 s26, 0, v43
	v_cndmask_b32_e32 v34, v35, v34, vcc_lo
	v_cndmask_b32_e64 v37, v37, v39, s26
	v_cmp_nge_f32_e32 vcc_lo, 1.0, v34
	v_mul_f32_e32 v35, 0x37800000, v37
	v_cndmask_b32_e32 v23, v38, v23, vcc_lo
	v_cmp_class_f32_e64 vcc_lo, v36, 0x260
	v_cndmask_b32_e64 v34, v37, v35, s25
	v_add_f32_e32 v35, 1.0, v23
	v_cndmask_b32_e32 v34, v34, v36, vcc_lo
	v_cmp_nge_f32_e32 vcc_lo, 1.0, v34
	v_cndmask_b32_e32 v23, v35, v23, vcc_lo
	s_cbranch_scc1 .LBB35_206
; %bb.207:
	v_mul_f32_e32 v23, 4.0, v23
	v_div_scale_f32 v33, null, 0x461c4000, 0x461c4000, v23
	v_rcp_f32_e32 v34, v33
	v_fma_f32 v35, -v33, v34, 1.0
	v_fmac_f32_e32 v34, v35, v34
	v_div_scale_f32 v35, vcc_lo, v23, 0x461c4000, v23
	v_mul_f32_e32 v36, v35, v34
	v_fma_f32 v37, -v33, v36, v35
	v_fmac_f32_e32 v36, v37, v34
	v_fma_f32 v33, -v33, v36, v35
	v_div_fmas_f32 v33, v33, v34, v36
	v_div_fixup_f32 v23, v33, 0x461c4000, v23
.LBB35_208:
	s_or_b32 exec_lo, exec_lo, s27
	v_or_b32_e32 v33, 0x1600, v0
	v_cmp_gt_u32_e64 s25, s45, v33
	s_and_saveexec_b32 s28, s25
	s_cbranch_execz .LBB35_212
; %bb.209:
	v_add_nc_u32_e32 v24, s37, v33
	s_movk_i32 s29, 0x2710
	v_lshlrev_b32_e32 v33, 12, v24
	v_add3_u32 v24, v24, v33, 0x7ed55d16
	v_lshrrev_b32_e32 v33, 19, v24
	v_xor3_b32 v24, v24, v33, 0xc761c23c
	v_lshl_add_u32 v24, v24, 5, v24
	v_add_nc_u32_e32 v33, 0xe9f8cc1d, v24
	v_lshl_add_u32 v24, v24, 9, 0xaccf6200
	v_xor_b32_e32 v24, v33, v24
	v_lshlrev_b32_e32 v33, 3, v24
	v_add3_u32 v24, v24, v33, 0xfd7046c5
	v_lshrrev_b32_e32 v33, 16, v24
	v_xor3_b32 v24, v24, v33, 0xb55a4f09
	v_mul_hi_u32 v33, v24, 3
	v_sub_nc_u32_e32 v34, v24, v33
	v_lshrrev_b32_e32 v34, 1, v34
	v_add_nc_u32_e32 v33, v34, v33
	v_lshrrev_b32_e32 v33, 30, v33
	v_mul_lo_u32 v33, 0x7fffffff, v33
	v_sub_nc_u32_e32 v24, v24, v33
	v_max_u32_e32 v33, 1, v24
	v_mov_b32_e32 v24, 0
.LBB35_210:                             ; =>This Inner Loop Header: Depth=1
	v_mul_hi_u32 v34, 0xbc8f1391, v33
	s_add_i32 s29, s29, -2
	s_cmp_lg_u32 s29, 0
	v_lshrrev_b32_e32 v34, 15, v34
	v_mul_u32_u24_e32 v35, 0xadc8, v34
	v_mul_u32_u24_e32 v34, 0xd47, v34
	v_sub_nc_u32_e32 v33, v33, v35
	v_xor_b32_e32 v35, 0x7fffffff, v34
	v_sub_nc_u32_e32 v36, 0, v34
	v_mul_lo_u32 v33, 0xbc8f, v33
	v_cmp_lt_u32_e32 vcc_lo, v33, v34
	v_cndmask_b32_e32 v34, v36, v35, vcc_lo
	v_add_nc_u32_e32 v33, v34, v33
	v_mul_hi_u32 v34, 0xbc8f1391, v33
	v_lshrrev_b32_e32 v34, 15, v34
	v_mul_u32_u24_e32 v35, 0xadc8, v34
	v_mul_u32_u24_e32 v34, 0xd47, v34
	v_sub_nc_u32_e32 v35, v33, v35
	v_xor_b32_e32 v36, 0x7fffffff, v34
	v_sub_nc_u32_e32 v37, 0, v34
	v_add_nc_u32_e32 v33, -1, v33
	v_mul_lo_u32 v35, 0xbc8f, v35
	v_cvt_f32_u32_e32 v33, v33
	v_cmp_lt_u32_e32 vcc_lo, v35, v34
	v_cndmask_b32_e32 v34, v37, v36, vcc_lo
	v_add_nc_u32_e32 v34, v34, v35
	v_mul_hi_u32 v35, 0xbc8f1391, v34
	v_lshrrev_b32_e32 v35, 15, v35
	v_mul_u32_u24_e32 v36, 0xadc8, v35
	v_mul_u32_u24_e32 v35, 0xd47, v35
	v_sub_nc_u32_e32 v36, v34, v36
	v_xor_b32_e32 v37, 0x7fffffff, v35
	v_sub_nc_u32_e32 v38, 0, v35
	v_add_nc_u32_e32 v34, -1, v34
	v_mul_lo_u32 v36, 0xbc8f, v36
	v_cvt_f32_u32_e32 v34, v34
	v_fma_f32 v34, 0x30000000, v34, 0
	v_cmp_lt_u32_e32 vcc_lo, v36, v35
	v_mul_f32_e32 v34, v34, v34
	v_cndmask_b32_e32 v35, v38, v37, vcc_lo
	v_fma_f32 v37, 0x30000000, v33, 0
	v_add_nc_u32_e32 v35, v35, v36
	v_fmac_f32_e32 v34, v37, v37
	v_mul_hi_u32 v36, 0xbc8f1391, v35
	v_mul_f32_e32 v37, 0x4f800000, v34
	v_lshrrev_b32_e32 v33, 15, v36
	v_mul_u32_u24_e32 v36, 0xadc8, v33
	v_mul_u32_u24_e32 v33, 0xd47, v33
	v_sub_nc_u32_e32 v36, v35, v36
	v_xor_b32_e32 v38, 0x7fffffff, v33
	v_sub_nc_u32_e32 v39, 0, v33
	v_add_nc_u32_e32 v35, -1, v35
	v_mul_lo_u32 v36, 0xbc8f, v36
	v_cvt_f32_u32_e32 v35, v35
	v_fma_f32 v35, 0x30000000, v35, 0
	v_cmp_lt_u32_e32 vcc_lo, v36, v33
	v_cndmask_b32_e32 v33, v39, v38, vcc_lo
	v_cmp_gt_f32_e32 vcc_lo, 0xf800000, v34
	v_add_f32_e32 v38, 1.0, v24
	v_add_nc_u32_e32 v33, v33, v36
	v_cndmask_b32_e32 v34, v34, v37, vcc_lo
	v_add_nc_u32_e32 v36, -1, v33
	v_cvt_f32_u32_e32 v36, v36
	v_fma_f32 v36, 0x30000000, v36, 0
	v_mul_f32_e32 v36, v36, v36
	v_fmac_f32_e32 v36, v35, v35
	v_sqrt_f32_e32 v35, v34
	v_mul_f32_e32 v37, 0x4f800000, v36
	v_cmp_gt_f32_e64 s26, 0xf800000, v36
	v_cndmask_b32_e64 v36, v36, v37, s26
	v_add_nc_u32_e32 v37, -1, v35
	v_add_nc_u32_e32 v39, 1, v35
	v_sqrt_f32_e32 v40, v36
	v_fma_f32 v41, -v37, v35, v34
	v_fma_f32 v42, -v39, v35, v34
	v_cmp_ge_f32_e64 s27, 0, v41
	v_cndmask_b32_e64 v35, v35, v37, s27
	v_cmp_lt_f32_e64 s27, 0, v42
	v_add_nc_u32_e32 v37, -1, v40
	v_cndmask_b32_e64 v35, v35, v39, s27
	v_add_nc_u32_e32 v39, 1, v40
	v_fma_f32 v41, -v37, v40, v36
	v_mul_f32_e32 v42, 0x37800000, v35
	v_fma_f32 v43, -v39, v40, v36
	v_cmp_ge_f32_e64 s27, 0, v41
	v_cndmask_b32_e32 v35, v35, v42, vcc_lo
	v_cmp_class_f32_e64 vcc_lo, v34, 0x260
	v_cndmask_b32_e64 v37, v40, v37, s27
	v_cmp_lt_f32_e64 s27, 0, v43
	v_cndmask_b32_e32 v34, v35, v34, vcc_lo
	v_cndmask_b32_e64 v37, v37, v39, s27
	v_cmp_nge_f32_e32 vcc_lo, 1.0, v34
	v_mul_f32_e32 v35, 0x37800000, v37
	v_cndmask_b32_e32 v24, v38, v24, vcc_lo
	v_cmp_class_f32_e64 vcc_lo, v36, 0x260
	v_cndmask_b32_e64 v34, v37, v35, s26
	v_add_f32_e32 v35, 1.0, v24
	v_cndmask_b32_e32 v34, v34, v36, vcc_lo
	v_cmp_nge_f32_e32 vcc_lo, 1.0, v34
	v_cndmask_b32_e32 v24, v35, v24, vcc_lo
	s_cbranch_scc1 .LBB35_210
; %bb.211:
	v_mul_f32_e32 v24, 4.0, v24
	v_div_scale_f32 v33, null, 0x461c4000, 0x461c4000, v24
	v_rcp_f32_e32 v34, v33
	v_fma_f32 v35, -v33, v34, 1.0
	v_fmac_f32_e32 v34, v35, v34
	v_div_scale_f32 v35, vcc_lo, v24, 0x461c4000, v24
	v_mul_f32_e32 v36, v35, v34
	v_fma_f32 v37, -v33, v36, v35
	v_fmac_f32_e32 v36, v37, v34
	v_fma_f32 v33, -v33, v36, v35
	v_div_fmas_f32 v33, v33, v34, v36
	v_div_fixup_f32 v24, v33, 0x461c4000, v24
.LBB35_212:
	s_or_b32 exec_lo, exec_lo, s28
	v_or_b32_e32 v33, 0x1700, v0
	v_cmp_gt_u32_e64 s26, s45, v33
	s_and_saveexec_b32 s29, s26
	s_cbranch_execz .LBB35_216
; %bb.213:
	v_add_nc_u32_e32 v25, s37, v33
	s_movk_i32 s30, 0x2710
	v_lshlrev_b32_e32 v33, 12, v25
	v_add3_u32 v25, v25, v33, 0x7ed55d16
	v_lshrrev_b32_e32 v33, 19, v25
	v_xor3_b32 v25, v25, v33, 0xc761c23c
	v_lshl_add_u32 v25, v25, 5, v25
	v_add_nc_u32_e32 v33, 0xe9f8cc1d, v25
	v_lshl_add_u32 v25, v25, 9, 0xaccf6200
	v_xor_b32_e32 v25, v33, v25
	v_lshlrev_b32_e32 v33, 3, v25
	v_add3_u32 v25, v25, v33, 0xfd7046c5
	v_lshrrev_b32_e32 v33, 16, v25
	v_xor3_b32 v25, v25, v33, 0xb55a4f09
	v_mul_hi_u32 v33, v25, 3
	v_sub_nc_u32_e32 v34, v25, v33
	v_lshrrev_b32_e32 v34, 1, v34
	v_add_nc_u32_e32 v33, v34, v33
	v_lshrrev_b32_e32 v33, 30, v33
	v_mul_lo_u32 v33, 0x7fffffff, v33
	v_sub_nc_u32_e32 v25, v25, v33
	v_max_u32_e32 v33, 1, v25
	v_mov_b32_e32 v25, 0
.LBB35_214:                             ; =>This Inner Loop Header: Depth=1
	v_mul_hi_u32 v34, 0xbc8f1391, v33
	s_add_i32 s30, s30, -2
	s_cmp_lg_u32 s30, 0
	v_lshrrev_b32_e32 v34, 15, v34
	v_mul_u32_u24_e32 v35, 0xadc8, v34
	v_mul_u32_u24_e32 v34, 0xd47, v34
	v_sub_nc_u32_e32 v33, v33, v35
	v_xor_b32_e32 v35, 0x7fffffff, v34
	v_sub_nc_u32_e32 v36, 0, v34
	v_mul_lo_u32 v33, 0xbc8f, v33
	v_cmp_lt_u32_e32 vcc_lo, v33, v34
	v_cndmask_b32_e32 v34, v36, v35, vcc_lo
	v_add_nc_u32_e32 v33, v34, v33
	v_mul_hi_u32 v34, 0xbc8f1391, v33
	v_lshrrev_b32_e32 v34, 15, v34
	v_mul_u32_u24_e32 v35, 0xadc8, v34
	v_mul_u32_u24_e32 v34, 0xd47, v34
	v_sub_nc_u32_e32 v35, v33, v35
	v_xor_b32_e32 v36, 0x7fffffff, v34
	v_sub_nc_u32_e32 v37, 0, v34
	v_add_nc_u32_e32 v33, -1, v33
	v_mul_lo_u32 v35, 0xbc8f, v35
	v_cvt_f32_u32_e32 v33, v33
	v_cmp_lt_u32_e32 vcc_lo, v35, v34
	v_cndmask_b32_e32 v34, v37, v36, vcc_lo
	v_add_nc_u32_e32 v34, v34, v35
	v_mul_hi_u32 v35, 0xbc8f1391, v34
	v_lshrrev_b32_e32 v35, 15, v35
	v_mul_u32_u24_e32 v36, 0xadc8, v35
	v_mul_u32_u24_e32 v35, 0xd47, v35
	v_sub_nc_u32_e32 v36, v34, v36
	v_xor_b32_e32 v37, 0x7fffffff, v35
	v_sub_nc_u32_e32 v38, 0, v35
	v_add_nc_u32_e32 v34, -1, v34
	v_mul_lo_u32 v36, 0xbc8f, v36
	v_cvt_f32_u32_e32 v34, v34
	v_fma_f32 v34, 0x30000000, v34, 0
	v_cmp_lt_u32_e32 vcc_lo, v36, v35
	v_mul_f32_e32 v34, v34, v34
	v_cndmask_b32_e32 v35, v38, v37, vcc_lo
	v_fma_f32 v37, 0x30000000, v33, 0
	v_add_nc_u32_e32 v35, v35, v36
	v_fmac_f32_e32 v34, v37, v37
	v_mul_hi_u32 v36, 0xbc8f1391, v35
	v_mul_f32_e32 v37, 0x4f800000, v34
	v_lshrrev_b32_e32 v33, 15, v36
	v_mul_u32_u24_e32 v36, 0xadc8, v33
	v_mul_u32_u24_e32 v33, 0xd47, v33
	v_sub_nc_u32_e32 v36, v35, v36
	v_xor_b32_e32 v38, 0x7fffffff, v33
	v_sub_nc_u32_e32 v39, 0, v33
	v_add_nc_u32_e32 v35, -1, v35
	v_mul_lo_u32 v36, 0xbc8f, v36
	v_cvt_f32_u32_e32 v35, v35
	v_fma_f32 v35, 0x30000000, v35, 0
	v_cmp_lt_u32_e32 vcc_lo, v36, v33
	v_cndmask_b32_e32 v33, v39, v38, vcc_lo
	v_cmp_gt_f32_e32 vcc_lo, 0xf800000, v34
	v_add_f32_e32 v38, 1.0, v25
	v_add_nc_u32_e32 v33, v33, v36
	v_cndmask_b32_e32 v34, v34, v37, vcc_lo
	v_add_nc_u32_e32 v36, -1, v33
	v_cvt_f32_u32_e32 v36, v36
	v_fma_f32 v36, 0x30000000, v36, 0
	v_mul_f32_e32 v36, v36, v36
	v_fmac_f32_e32 v36, v35, v35
	v_sqrt_f32_e32 v35, v34
	v_mul_f32_e32 v37, 0x4f800000, v36
	v_cmp_gt_f32_e64 s27, 0xf800000, v36
	v_cndmask_b32_e64 v36, v36, v37, s27
	v_add_nc_u32_e32 v37, -1, v35
	v_add_nc_u32_e32 v39, 1, v35
	v_sqrt_f32_e32 v40, v36
	v_fma_f32 v41, -v37, v35, v34
	v_fma_f32 v42, -v39, v35, v34
	v_cmp_ge_f32_e64 s28, 0, v41
	v_cndmask_b32_e64 v35, v35, v37, s28
	v_cmp_lt_f32_e64 s28, 0, v42
	v_add_nc_u32_e32 v37, -1, v40
	v_cndmask_b32_e64 v35, v35, v39, s28
	v_add_nc_u32_e32 v39, 1, v40
	v_fma_f32 v41, -v37, v40, v36
	v_mul_f32_e32 v42, 0x37800000, v35
	v_fma_f32 v43, -v39, v40, v36
	v_cmp_ge_f32_e64 s28, 0, v41
	v_cndmask_b32_e32 v35, v35, v42, vcc_lo
	v_cmp_class_f32_e64 vcc_lo, v34, 0x260
	v_cndmask_b32_e64 v37, v40, v37, s28
	v_cmp_lt_f32_e64 s28, 0, v43
	v_cndmask_b32_e32 v34, v35, v34, vcc_lo
	v_cndmask_b32_e64 v37, v37, v39, s28
	v_cmp_nge_f32_e32 vcc_lo, 1.0, v34
	v_mul_f32_e32 v35, 0x37800000, v37
	v_cndmask_b32_e32 v25, v38, v25, vcc_lo
	v_cmp_class_f32_e64 vcc_lo, v36, 0x260
	v_cndmask_b32_e64 v34, v37, v35, s27
	v_add_f32_e32 v35, 1.0, v25
	v_cndmask_b32_e32 v34, v34, v36, vcc_lo
	v_cmp_nge_f32_e32 vcc_lo, 1.0, v34
	v_cndmask_b32_e32 v25, v35, v25, vcc_lo
	s_cbranch_scc1 .LBB35_214
; %bb.215:
	v_mul_f32_e32 v25, 4.0, v25
	v_div_scale_f32 v33, null, 0x461c4000, 0x461c4000, v25
	v_rcp_f32_e32 v34, v33
	v_fma_f32 v35, -v33, v34, 1.0
	v_fmac_f32_e32 v34, v35, v34
	v_div_scale_f32 v35, vcc_lo, v25, 0x461c4000, v25
	v_mul_f32_e32 v36, v35, v34
	v_fma_f32 v37, -v33, v36, v35
	v_fmac_f32_e32 v36, v37, v34
	v_fma_f32 v33, -v33, v36, v35
	v_div_fmas_f32 v33, v33, v34, v36
	v_div_fixup_f32 v25, v33, 0x461c4000, v25
.LBB35_216:
	s_or_b32 exec_lo, exec_lo, s29
	v_or_b32_e32 v33, 0x1800, v0
	v_cmp_gt_u32_e64 s27, s45, v33
	s_and_saveexec_b32 s30, s27
	s_cbranch_execz .LBB35_220
; %bb.217:
	v_add_nc_u32_e32 v26, s37, v33
	s_movk_i32 s31, 0x2710
	v_lshlrev_b32_e32 v33, 12, v26
	v_add3_u32 v26, v26, v33, 0x7ed55d16
	v_lshrrev_b32_e32 v33, 19, v26
	v_xor3_b32 v26, v26, v33, 0xc761c23c
	v_lshl_add_u32 v26, v26, 5, v26
	v_add_nc_u32_e32 v33, 0xe9f8cc1d, v26
	v_lshl_add_u32 v26, v26, 9, 0xaccf6200
	v_xor_b32_e32 v26, v33, v26
	v_lshlrev_b32_e32 v33, 3, v26
	v_add3_u32 v26, v26, v33, 0xfd7046c5
	v_lshrrev_b32_e32 v33, 16, v26
	v_xor3_b32 v26, v26, v33, 0xb55a4f09
	v_mul_hi_u32 v33, v26, 3
	v_sub_nc_u32_e32 v34, v26, v33
	v_lshrrev_b32_e32 v34, 1, v34
	v_add_nc_u32_e32 v33, v34, v33
	v_lshrrev_b32_e32 v33, 30, v33
	v_mul_lo_u32 v33, 0x7fffffff, v33
	v_sub_nc_u32_e32 v26, v26, v33
	v_max_u32_e32 v33, 1, v26
	v_mov_b32_e32 v26, 0
.LBB35_218:                             ; =>This Inner Loop Header: Depth=1
	v_mul_hi_u32 v34, 0xbc8f1391, v33
	s_add_i32 s31, s31, -2
	s_cmp_lg_u32 s31, 0
	v_lshrrev_b32_e32 v34, 15, v34
	v_mul_u32_u24_e32 v35, 0xadc8, v34
	v_mul_u32_u24_e32 v34, 0xd47, v34
	v_sub_nc_u32_e32 v33, v33, v35
	v_xor_b32_e32 v35, 0x7fffffff, v34
	v_sub_nc_u32_e32 v36, 0, v34
	v_mul_lo_u32 v33, 0xbc8f, v33
	v_cmp_lt_u32_e32 vcc_lo, v33, v34
	v_cndmask_b32_e32 v34, v36, v35, vcc_lo
	v_add_nc_u32_e32 v33, v34, v33
	v_mul_hi_u32 v34, 0xbc8f1391, v33
	v_lshrrev_b32_e32 v34, 15, v34
	v_mul_u32_u24_e32 v35, 0xadc8, v34
	v_mul_u32_u24_e32 v34, 0xd47, v34
	v_sub_nc_u32_e32 v35, v33, v35
	v_xor_b32_e32 v36, 0x7fffffff, v34
	v_sub_nc_u32_e32 v37, 0, v34
	v_add_nc_u32_e32 v33, -1, v33
	v_mul_lo_u32 v35, 0xbc8f, v35
	v_cvt_f32_u32_e32 v33, v33
	v_cmp_lt_u32_e32 vcc_lo, v35, v34
	v_cndmask_b32_e32 v34, v37, v36, vcc_lo
	v_add_nc_u32_e32 v34, v34, v35
	v_mul_hi_u32 v35, 0xbc8f1391, v34
	v_lshrrev_b32_e32 v35, 15, v35
	v_mul_u32_u24_e32 v36, 0xadc8, v35
	v_mul_u32_u24_e32 v35, 0xd47, v35
	v_sub_nc_u32_e32 v36, v34, v36
	v_xor_b32_e32 v37, 0x7fffffff, v35
	v_sub_nc_u32_e32 v38, 0, v35
	v_add_nc_u32_e32 v34, -1, v34
	v_mul_lo_u32 v36, 0xbc8f, v36
	v_cvt_f32_u32_e32 v34, v34
	v_fma_f32 v34, 0x30000000, v34, 0
	v_cmp_lt_u32_e32 vcc_lo, v36, v35
	v_mul_f32_e32 v34, v34, v34
	v_cndmask_b32_e32 v35, v38, v37, vcc_lo
	v_fma_f32 v37, 0x30000000, v33, 0
	v_add_nc_u32_e32 v35, v35, v36
	v_fmac_f32_e32 v34, v37, v37
	v_mul_hi_u32 v36, 0xbc8f1391, v35
	v_mul_f32_e32 v37, 0x4f800000, v34
	v_lshrrev_b32_e32 v33, 15, v36
	v_mul_u32_u24_e32 v36, 0xadc8, v33
	v_mul_u32_u24_e32 v33, 0xd47, v33
	v_sub_nc_u32_e32 v36, v35, v36
	v_xor_b32_e32 v38, 0x7fffffff, v33
	v_sub_nc_u32_e32 v39, 0, v33
	v_add_nc_u32_e32 v35, -1, v35
	v_mul_lo_u32 v36, 0xbc8f, v36
	v_cvt_f32_u32_e32 v35, v35
	v_fma_f32 v35, 0x30000000, v35, 0
	v_cmp_lt_u32_e32 vcc_lo, v36, v33
	v_cndmask_b32_e32 v33, v39, v38, vcc_lo
	v_cmp_gt_f32_e32 vcc_lo, 0xf800000, v34
	v_add_f32_e32 v38, 1.0, v26
	v_add_nc_u32_e32 v33, v33, v36
	v_cndmask_b32_e32 v34, v34, v37, vcc_lo
	v_add_nc_u32_e32 v36, -1, v33
	v_cvt_f32_u32_e32 v36, v36
	v_fma_f32 v36, 0x30000000, v36, 0
	v_mul_f32_e32 v36, v36, v36
	v_fmac_f32_e32 v36, v35, v35
	v_sqrt_f32_e32 v35, v34
	v_mul_f32_e32 v37, 0x4f800000, v36
	v_cmp_gt_f32_e64 s28, 0xf800000, v36
	v_cndmask_b32_e64 v36, v36, v37, s28
	v_add_nc_u32_e32 v37, -1, v35
	v_add_nc_u32_e32 v39, 1, v35
	v_sqrt_f32_e32 v40, v36
	v_fma_f32 v41, -v37, v35, v34
	v_fma_f32 v42, -v39, v35, v34
	v_cmp_ge_f32_e64 s29, 0, v41
	v_cndmask_b32_e64 v35, v35, v37, s29
	v_cmp_lt_f32_e64 s29, 0, v42
	v_add_nc_u32_e32 v37, -1, v40
	v_cndmask_b32_e64 v35, v35, v39, s29
	v_add_nc_u32_e32 v39, 1, v40
	v_fma_f32 v41, -v37, v40, v36
	v_mul_f32_e32 v42, 0x37800000, v35
	v_fma_f32 v43, -v39, v40, v36
	v_cmp_ge_f32_e64 s29, 0, v41
	v_cndmask_b32_e32 v35, v35, v42, vcc_lo
	v_cmp_class_f32_e64 vcc_lo, v34, 0x260
	v_cndmask_b32_e64 v37, v40, v37, s29
	v_cmp_lt_f32_e64 s29, 0, v43
	v_cndmask_b32_e32 v34, v35, v34, vcc_lo
	v_cndmask_b32_e64 v37, v37, v39, s29
	v_cmp_nge_f32_e32 vcc_lo, 1.0, v34
	v_mul_f32_e32 v35, 0x37800000, v37
	v_cndmask_b32_e32 v26, v38, v26, vcc_lo
	v_cmp_class_f32_e64 vcc_lo, v36, 0x260
	v_cndmask_b32_e64 v34, v37, v35, s28
	v_add_f32_e32 v35, 1.0, v26
	v_cndmask_b32_e32 v34, v34, v36, vcc_lo
	v_cmp_nge_f32_e32 vcc_lo, 1.0, v34
	v_cndmask_b32_e32 v26, v35, v26, vcc_lo
	s_cbranch_scc1 .LBB35_218
; %bb.219:
	v_mul_f32_e32 v26, 4.0, v26
	v_div_scale_f32 v33, null, 0x461c4000, 0x461c4000, v26
	v_rcp_f32_e32 v34, v33
	v_fma_f32 v35, -v33, v34, 1.0
	v_fmac_f32_e32 v34, v35, v34
	v_div_scale_f32 v35, vcc_lo, v26, 0x461c4000, v26
	v_mul_f32_e32 v36, v35, v34
	v_fma_f32 v37, -v33, v36, v35
	v_fmac_f32_e32 v36, v37, v34
	v_fma_f32 v33, -v33, v36, v35
	v_div_fmas_f32 v33, v33, v34, v36
	v_div_fixup_f32 v26, v33, 0x461c4000, v26
.LBB35_220:
	s_or_b32 exec_lo, exec_lo, s30
	v_or_b32_e32 v33, 0x1900, v0
	v_cmp_gt_u32_e64 s28, s45, v33
	s_and_saveexec_b32 s31, s28
	s_cbranch_execz .LBB35_224
; %bb.221:
	v_add_nc_u32_e32 v27, s37, v33
	s_movk_i32 s33, 0x2710
	v_lshlrev_b32_e32 v33, 12, v27
	v_add3_u32 v27, v27, v33, 0x7ed55d16
	v_lshrrev_b32_e32 v33, 19, v27
	v_xor3_b32 v27, v27, v33, 0xc761c23c
	v_lshl_add_u32 v27, v27, 5, v27
	v_add_nc_u32_e32 v33, 0xe9f8cc1d, v27
	v_lshl_add_u32 v27, v27, 9, 0xaccf6200
	v_xor_b32_e32 v27, v33, v27
	v_lshlrev_b32_e32 v33, 3, v27
	v_add3_u32 v27, v27, v33, 0xfd7046c5
	v_lshrrev_b32_e32 v33, 16, v27
	v_xor3_b32 v27, v27, v33, 0xb55a4f09
	v_mul_hi_u32 v33, v27, 3
	v_sub_nc_u32_e32 v34, v27, v33
	v_lshrrev_b32_e32 v34, 1, v34
	v_add_nc_u32_e32 v33, v34, v33
	v_lshrrev_b32_e32 v33, 30, v33
	v_mul_lo_u32 v33, 0x7fffffff, v33
	v_sub_nc_u32_e32 v27, v27, v33
	v_max_u32_e32 v33, 1, v27
	v_mov_b32_e32 v27, 0
.LBB35_222:                             ; =>This Inner Loop Header: Depth=1
	v_mul_hi_u32 v34, 0xbc8f1391, v33
	s_add_i32 s33, s33, -2
	s_cmp_lg_u32 s33, 0
	v_lshrrev_b32_e32 v34, 15, v34
	v_mul_u32_u24_e32 v35, 0xadc8, v34
	v_mul_u32_u24_e32 v34, 0xd47, v34
	v_sub_nc_u32_e32 v33, v33, v35
	v_xor_b32_e32 v35, 0x7fffffff, v34
	v_sub_nc_u32_e32 v36, 0, v34
	v_mul_lo_u32 v33, 0xbc8f, v33
	v_cmp_lt_u32_e32 vcc_lo, v33, v34
	v_cndmask_b32_e32 v34, v36, v35, vcc_lo
	v_add_nc_u32_e32 v33, v34, v33
	v_mul_hi_u32 v34, 0xbc8f1391, v33
	v_lshrrev_b32_e32 v34, 15, v34
	v_mul_u32_u24_e32 v35, 0xadc8, v34
	v_mul_u32_u24_e32 v34, 0xd47, v34
	v_sub_nc_u32_e32 v35, v33, v35
	v_xor_b32_e32 v36, 0x7fffffff, v34
	v_sub_nc_u32_e32 v37, 0, v34
	v_add_nc_u32_e32 v33, -1, v33
	v_mul_lo_u32 v35, 0xbc8f, v35
	v_cvt_f32_u32_e32 v33, v33
	v_cmp_lt_u32_e32 vcc_lo, v35, v34
	v_cndmask_b32_e32 v34, v37, v36, vcc_lo
	v_add_nc_u32_e32 v34, v34, v35
	v_mul_hi_u32 v35, 0xbc8f1391, v34
	v_lshrrev_b32_e32 v35, 15, v35
	v_mul_u32_u24_e32 v36, 0xadc8, v35
	v_mul_u32_u24_e32 v35, 0xd47, v35
	v_sub_nc_u32_e32 v36, v34, v36
	v_xor_b32_e32 v37, 0x7fffffff, v35
	v_sub_nc_u32_e32 v38, 0, v35
	v_add_nc_u32_e32 v34, -1, v34
	v_mul_lo_u32 v36, 0xbc8f, v36
	v_cvt_f32_u32_e32 v34, v34
	v_fma_f32 v34, 0x30000000, v34, 0
	v_cmp_lt_u32_e32 vcc_lo, v36, v35
	v_mul_f32_e32 v34, v34, v34
	v_cndmask_b32_e32 v35, v38, v37, vcc_lo
	v_fma_f32 v37, 0x30000000, v33, 0
	v_add_nc_u32_e32 v35, v35, v36
	v_fmac_f32_e32 v34, v37, v37
	v_mul_hi_u32 v36, 0xbc8f1391, v35
	v_mul_f32_e32 v37, 0x4f800000, v34
	v_lshrrev_b32_e32 v33, 15, v36
	v_mul_u32_u24_e32 v36, 0xadc8, v33
	v_mul_u32_u24_e32 v33, 0xd47, v33
	v_sub_nc_u32_e32 v36, v35, v36
	v_xor_b32_e32 v38, 0x7fffffff, v33
	v_sub_nc_u32_e32 v39, 0, v33
	v_add_nc_u32_e32 v35, -1, v35
	v_mul_lo_u32 v36, 0xbc8f, v36
	v_cvt_f32_u32_e32 v35, v35
	v_fma_f32 v35, 0x30000000, v35, 0
	v_cmp_lt_u32_e32 vcc_lo, v36, v33
	v_cndmask_b32_e32 v33, v39, v38, vcc_lo
	v_cmp_gt_f32_e32 vcc_lo, 0xf800000, v34
	v_add_f32_e32 v38, 1.0, v27
	v_add_nc_u32_e32 v33, v33, v36
	v_cndmask_b32_e32 v34, v34, v37, vcc_lo
	v_add_nc_u32_e32 v36, -1, v33
	v_cvt_f32_u32_e32 v36, v36
	v_fma_f32 v36, 0x30000000, v36, 0
	v_mul_f32_e32 v36, v36, v36
	v_fmac_f32_e32 v36, v35, v35
	v_sqrt_f32_e32 v35, v34
	v_mul_f32_e32 v37, 0x4f800000, v36
	v_cmp_gt_f32_e64 s29, 0xf800000, v36
	v_cndmask_b32_e64 v36, v36, v37, s29
	v_add_nc_u32_e32 v37, -1, v35
	v_add_nc_u32_e32 v39, 1, v35
	v_sqrt_f32_e32 v40, v36
	v_fma_f32 v41, -v37, v35, v34
	v_fma_f32 v42, -v39, v35, v34
	v_cmp_ge_f32_e64 s30, 0, v41
	v_cndmask_b32_e64 v35, v35, v37, s30
	v_cmp_lt_f32_e64 s30, 0, v42
	v_add_nc_u32_e32 v37, -1, v40
	v_cndmask_b32_e64 v35, v35, v39, s30
	v_add_nc_u32_e32 v39, 1, v40
	v_fma_f32 v41, -v37, v40, v36
	v_mul_f32_e32 v42, 0x37800000, v35
	v_fma_f32 v43, -v39, v40, v36
	v_cmp_ge_f32_e64 s30, 0, v41
	v_cndmask_b32_e32 v35, v35, v42, vcc_lo
	v_cmp_class_f32_e64 vcc_lo, v34, 0x260
	v_cndmask_b32_e64 v37, v40, v37, s30
	v_cmp_lt_f32_e64 s30, 0, v43
	v_cndmask_b32_e32 v34, v35, v34, vcc_lo
	v_cndmask_b32_e64 v37, v37, v39, s30
	v_cmp_nge_f32_e32 vcc_lo, 1.0, v34
	v_mul_f32_e32 v35, 0x37800000, v37
	v_cndmask_b32_e32 v27, v38, v27, vcc_lo
	v_cmp_class_f32_e64 vcc_lo, v36, 0x260
	v_cndmask_b32_e64 v34, v37, v35, s29
	v_add_f32_e32 v35, 1.0, v27
	v_cndmask_b32_e32 v34, v34, v36, vcc_lo
	v_cmp_nge_f32_e32 vcc_lo, 1.0, v34
	v_cndmask_b32_e32 v27, v35, v27, vcc_lo
	s_cbranch_scc1 .LBB35_222
; %bb.223:
	v_mul_f32_e32 v27, 4.0, v27
	v_div_scale_f32 v33, null, 0x461c4000, 0x461c4000, v27
	v_rcp_f32_e32 v34, v33
	v_fma_f32 v35, -v33, v34, 1.0
	v_fmac_f32_e32 v34, v35, v34
	v_div_scale_f32 v35, vcc_lo, v27, 0x461c4000, v27
	v_mul_f32_e32 v36, v35, v34
	v_fma_f32 v37, -v33, v36, v35
	v_fmac_f32_e32 v36, v37, v34
	v_fma_f32 v33, -v33, v36, v35
	v_div_fmas_f32 v33, v33, v34, v36
	v_div_fixup_f32 v27, v33, 0x461c4000, v27
.LBB35_224:
	s_or_b32 exec_lo, exec_lo, s31
	v_or_b32_e32 v33, 0x1a00, v0
	v_cmp_gt_u32_e64 s29, s45, v33
	s_and_saveexec_b32 s33, s29
	s_cbranch_execz .LBB35_228
; %bb.225:
	v_add_nc_u32_e32 v28, s37, v33
	s_movk_i32 s34, 0x2710
	v_lshlrev_b32_e32 v33, 12, v28
	v_add3_u32 v28, v28, v33, 0x7ed55d16
	v_lshrrev_b32_e32 v33, 19, v28
	v_xor3_b32 v28, v28, v33, 0xc761c23c
	v_lshl_add_u32 v28, v28, 5, v28
	v_add_nc_u32_e32 v33, 0xe9f8cc1d, v28
	v_lshl_add_u32 v28, v28, 9, 0xaccf6200
	v_xor_b32_e32 v28, v33, v28
	v_lshlrev_b32_e32 v33, 3, v28
	v_add3_u32 v28, v28, v33, 0xfd7046c5
	v_lshrrev_b32_e32 v33, 16, v28
	v_xor3_b32 v28, v28, v33, 0xb55a4f09
	v_mul_hi_u32 v33, v28, 3
	v_sub_nc_u32_e32 v34, v28, v33
	v_lshrrev_b32_e32 v34, 1, v34
	v_add_nc_u32_e32 v33, v34, v33
	v_lshrrev_b32_e32 v33, 30, v33
	v_mul_lo_u32 v33, 0x7fffffff, v33
	v_sub_nc_u32_e32 v28, v28, v33
	v_max_u32_e32 v33, 1, v28
	v_mov_b32_e32 v28, 0
.LBB35_226:                             ; =>This Inner Loop Header: Depth=1
	v_mul_hi_u32 v34, 0xbc8f1391, v33
	s_add_i32 s34, s34, -2
	s_cmp_lg_u32 s34, 0
	v_lshrrev_b32_e32 v34, 15, v34
	v_mul_u32_u24_e32 v35, 0xadc8, v34
	v_mul_u32_u24_e32 v34, 0xd47, v34
	v_sub_nc_u32_e32 v33, v33, v35
	v_xor_b32_e32 v35, 0x7fffffff, v34
	v_sub_nc_u32_e32 v36, 0, v34
	v_mul_lo_u32 v33, 0xbc8f, v33
	v_cmp_lt_u32_e32 vcc_lo, v33, v34
	v_cndmask_b32_e32 v34, v36, v35, vcc_lo
	v_add_nc_u32_e32 v33, v34, v33
	v_mul_hi_u32 v34, 0xbc8f1391, v33
	v_lshrrev_b32_e32 v34, 15, v34
	v_mul_u32_u24_e32 v35, 0xadc8, v34
	v_mul_u32_u24_e32 v34, 0xd47, v34
	v_sub_nc_u32_e32 v35, v33, v35
	v_xor_b32_e32 v36, 0x7fffffff, v34
	v_sub_nc_u32_e32 v37, 0, v34
	v_add_nc_u32_e32 v33, -1, v33
	v_mul_lo_u32 v35, 0xbc8f, v35
	v_cvt_f32_u32_e32 v33, v33
	v_cmp_lt_u32_e32 vcc_lo, v35, v34
	v_cndmask_b32_e32 v34, v37, v36, vcc_lo
	v_add_nc_u32_e32 v34, v34, v35
	v_mul_hi_u32 v35, 0xbc8f1391, v34
	v_lshrrev_b32_e32 v35, 15, v35
	v_mul_u32_u24_e32 v36, 0xadc8, v35
	v_mul_u32_u24_e32 v35, 0xd47, v35
	v_sub_nc_u32_e32 v36, v34, v36
	v_xor_b32_e32 v37, 0x7fffffff, v35
	v_sub_nc_u32_e32 v38, 0, v35
	v_add_nc_u32_e32 v34, -1, v34
	v_mul_lo_u32 v36, 0xbc8f, v36
	v_cvt_f32_u32_e32 v34, v34
	v_fma_f32 v34, 0x30000000, v34, 0
	v_cmp_lt_u32_e32 vcc_lo, v36, v35
	v_mul_f32_e32 v34, v34, v34
	v_cndmask_b32_e32 v35, v38, v37, vcc_lo
	v_fma_f32 v37, 0x30000000, v33, 0
	v_add_nc_u32_e32 v35, v35, v36
	v_fmac_f32_e32 v34, v37, v37
	v_mul_hi_u32 v36, 0xbc8f1391, v35
	v_mul_f32_e32 v37, 0x4f800000, v34
	v_lshrrev_b32_e32 v33, 15, v36
	v_mul_u32_u24_e32 v36, 0xadc8, v33
	v_mul_u32_u24_e32 v33, 0xd47, v33
	v_sub_nc_u32_e32 v36, v35, v36
	v_xor_b32_e32 v38, 0x7fffffff, v33
	v_sub_nc_u32_e32 v39, 0, v33
	v_add_nc_u32_e32 v35, -1, v35
	v_mul_lo_u32 v36, 0xbc8f, v36
	v_cvt_f32_u32_e32 v35, v35
	v_fma_f32 v35, 0x30000000, v35, 0
	v_cmp_lt_u32_e32 vcc_lo, v36, v33
	v_cndmask_b32_e32 v33, v39, v38, vcc_lo
	v_cmp_gt_f32_e32 vcc_lo, 0xf800000, v34
	v_add_f32_e32 v38, 1.0, v28
	v_add_nc_u32_e32 v33, v33, v36
	v_cndmask_b32_e32 v34, v34, v37, vcc_lo
	v_add_nc_u32_e32 v36, -1, v33
	v_cvt_f32_u32_e32 v36, v36
	v_fma_f32 v36, 0x30000000, v36, 0
	v_mul_f32_e32 v36, v36, v36
	v_fmac_f32_e32 v36, v35, v35
	v_sqrt_f32_e32 v35, v34
	v_mul_f32_e32 v37, 0x4f800000, v36
	v_cmp_gt_f32_e64 s30, 0xf800000, v36
	v_cndmask_b32_e64 v36, v36, v37, s30
	v_add_nc_u32_e32 v37, -1, v35
	v_add_nc_u32_e32 v39, 1, v35
	v_sqrt_f32_e32 v40, v36
	v_fma_f32 v41, -v37, v35, v34
	v_fma_f32 v42, -v39, v35, v34
	v_cmp_ge_f32_e64 s31, 0, v41
	v_cndmask_b32_e64 v35, v35, v37, s31
	v_cmp_lt_f32_e64 s31, 0, v42
	v_add_nc_u32_e32 v37, -1, v40
	v_cndmask_b32_e64 v35, v35, v39, s31
	v_add_nc_u32_e32 v39, 1, v40
	v_fma_f32 v41, -v37, v40, v36
	v_mul_f32_e32 v42, 0x37800000, v35
	v_fma_f32 v43, -v39, v40, v36
	v_cmp_ge_f32_e64 s31, 0, v41
	v_cndmask_b32_e32 v35, v35, v42, vcc_lo
	v_cmp_class_f32_e64 vcc_lo, v34, 0x260
	v_cndmask_b32_e64 v37, v40, v37, s31
	v_cmp_lt_f32_e64 s31, 0, v43
	v_cndmask_b32_e32 v34, v35, v34, vcc_lo
	v_cndmask_b32_e64 v37, v37, v39, s31
	v_cmp_nge_f32_e32 vcc_lo, 1.0, v34
	v_mul_f32_e32 v35, 0x37800000, v37
	v_cndmask_b32_e32 v28, v38, v28, vcc_lo
	v_cmp_class_f32_e64 vcc_lo, v36, 0x260
	v_cndmask_b32_e64 v34, v37, v35, s30
	v_add_f32_e32 v35, 1.0, v28
	v_cndmask_b32_e32 v34, v34, v36, vcc_lo
	v_cmp_nge_f32_e32 vcc_lo, 1.0, v34
	v_cndmask_b32_e32 v28, v35, v28, vcc_lo
	s_cbranch_scc1 .LBB35_226
; %bb.227:
	v_mul_f32_e32 v28, 4.0, v28
	v_div_scale_f32 v33, null, 0x461c4000, 0x461c4000, v28
	v_rcp_f32_e32 v34, v33
	v_fma_f32 v35, -v33, v34, 1.0
	v_fmac_f32_e32 v34, v35, v34
	v_div_scale_f32 v35, vcc_lo, v28, 0x461c4000, v28
	v_mul_f32_e32 v36, v35, v34
	v_fma_f32 v37, -v33, v36, v35
	v_fmac_f32_e32 v36, v37, v34
	v_fma_f32 v33, -v33, v36, v35
	v_div_fmas_f32 v33, v33, v34, v36
	v_div_fixup_f32 v28, v33, 0x461c4000, v28
.LBB35_228:
	s_or_b32 exec_lo, exec_lo, s33
	v_or_b32_e32 v33, 0x1b00, v0
	v_cmp_gt_u32_e64 s30, s45, v33
	s_and_saveexec_b32 s34, s30
	s_cbranch_execz .LBB35_232
; %bb.229:
	v_add_nc_u32_e32 v29, s37, v33
	s_movk_i32 s35, 0x2710
	v_lshlrev_b32_e32 v33, 12, v29
	v_add3_u32 v29, v29, v33, 0x7ed55d16
	v_lshrrev_b32_e32 v33, 19, v29
	v_xor3_b32 v29, v29, v33, 0xc761c23c
	v_lshl_add_u32 v29, v29, 5, v29
	v_add_nc_u32_e32 v33, 0xe9f8cc1d, v29
	v_lshl_add_u32 v29, v29, 9, 0xaccf6200
	v_xor_b32_e32 v29, v33, v29
	v_lshlrev_b32_e32 v33, 3, v29
	v_add3_u32 v29, v29, v33, 0xfd7046c5
	v_lshrrev_b32_e32 v33, 16, v29
	v_xor3_b32 v29, v29, v33, 0xb55a4f09
	v_mul_hi_u32 v33, v29, 3
	v_sub_nc_u32_e32 v34, v29, v33
	v_lshrrev_b32_e32 v34, 1, v34
	v_add_nc_u32_e32 v33, v34, v33
	v_lshrrev_b32_e32 v33, 30, v33
	v_mul_lo_u32 v33, 0x7fffffff, v33
	v_sub_nc_u32_e32 v29, v29, v33
	v_max_u32_e32 v33, 1, v29
	v_mov_b32_e32 v29, 0
.LBB35_230:                             ; =>This Inner Loop Header: Depth=1
	v_mul_hi_u32 v34, 0xbc8f1391, v33
	s_add_i32 s35, s35, -2
	s_cmp_lg_u32 s35, 0
	v_lshrrev_b32_e32 v34, 15, v34
	v_mul_u32_u24_e32 v35, 0xadc8, v34
	v_mul_u32_u24_e32 v34, 0xd47, v34
	v_sub_nc_u32_e32 v33, v33, v35
	v_xor_b32_e32 v35, 0x7fffffff, v34
	v_sub_nc_u32_e32 v36, 0, v34
	v_mul_lo_u32 v33, 0xbc8f, v33
	v_cmp_lt_u32_e32 vcc_lo, v33, v34
	v_cndmask_b32_e32 v34, v36, v35, vcc_lo
	v_add_nc_u32_e32 v33, v34, v33
	v_mul_hi_u32 v34, 0xbc8f1391, v33
	v_lshrrev_b32_e32 v34, 15, v34
	v_mul_u32_u24_e32 v35, 0xadc8, v34
	v_mul_u32_u24_e32 v34, 0xd47, v34
	v_sub_nc_u32_e32 v35, v33, v35
	v_xor_b32_e32 v36, 0x7fffffff, v34
	v_sub_nc_u32_e32 v37, 0, v34
	v_add_nc_u32_e32 v33, -1, v33
	v_mul_lo_u32 v35, 0xbc8f, v35
	v_cvt_f32_u32_e32 v33, v33
	v_cmp_lt_u32_e32 vcc_lo, v35, v34
	v_cndmask_b32_e32 v34, v37, v36, vcc_lo
	v_add_nc_u32_e32 v34, v34, v35
	v_mul_hi_u32 v35, 0xbc8f1391, v34
	v_lshrrev_b32_e32 v35, 15, v35
	v_mul_u32_u24_e32 v36, 0xadc8, v35
	v_mul_u32_u24_e32 v35, 0xd47, v35
	v_sub_nc_u32_e32 v36, v34, v36
	v_xor_b32_e32 v37, 0x7fffffff, v35
	v_sub_nc_u32_e32 v38, 0, v35
	v_add_nc_u32_e32 v34, -1, v34
	v_mul_lo_u32 v36, 0xbc8f, v36
	v_cvt_f32_u32_e32 v34, v34
	v_fma_f32 v34, 0x30000000, v34, 0
	v_cmp_lt_u32_e32 vcc_lo, v36, v35
	v_mul_f32_e32 v34, v34, v34
	v_cndmask_b32_e32 v35, v38, v37, vcc_lo
	v_fma_f32 v37, 0x30000000, v33, 0
	v_add_nc_u32_e32 v35, v35, v36
	v_fmac_f32_e32 v34, v37, v37
	v_mul_hi_u32 v36, 0xbc8f1391, v35
	v_mul_f32_e32 v37, 0x4f800000, v34
	v_lshrrev_b32_e32 v33, 15, v36
	v_mul_u32_u24_e32 v36, 0xadc8, v33
	v_mul_u32_u24_e32 v33, 0xd47, v33
	v_sub_nc_u32_e32 v36, v35, v36
	v_xor_b32_e32 v38, 0x7fffffff, v33
	v_sub_nc_u32_e32 v39, 0, v33
	v_add_nc_u32_e32 v35, -1, v35
	v_mul_lo_u32 v36, 0xbc8f, v36
	v_cvt_f32_u32_e32 v35, v35
	v_fma_f32 v35, 0x30000000, v35, 0
	v_cmp_lt_u32_e32 vcc_lo, v36, v33
	v_cndmask_b32_e32 v33, v39, v38, vcc_lo
	v_cmp_gt_f32_e32 vcc_lo, 0xf800000, v34
	v_add_f32_e32 v38, 1.0, v29
	v_add_nc_u32_e32 v33, v33, v36
	v_cndmask_b32_e32 v34, v34, v37, vcc_lo
	v_add_nc_u32_e32 v36, -1, v33
	v_cvt_f32_u32_e32 v36, v36
	v_fma_f32 v36, 0x30000000, v36, 0
	v_mul_f32_e32 v36, v36, v36
	v_fmac_f32_e32 v36, v35, v35
	v_sqrt_f32_e32 v35, v34
	v_mul_f32_e32 v37, 0x4f800000, v36
	v_cmp_gt_f32_e64 s31, 0xf800000, v36
	v_cndmask_b32_e64 v36, v36, v37, s31
	v_add_nc_u32_e32 v37, -1, v35
	v_add_nc_u32_e32 v39, 1, v35
	v_sqrt_f32_e32 v40, v36
	v_fma_f32 v41, -v37, v35, v34
	v_fma_f32 v42, -v39, v35, v34
	v_cmp_ge_f32_e64 s33, 0, v41
	v_cndmask_b32_e64 v35, v35, v37, s33
	v_cmp_lt_f32_e64 s33, 0, v42
	v_add_nc_u32_e32 v37, -1, v40
	v_cndmask_b32_e64 v35, v35, v39, s33
	v_add_nc_u32_e32 v39, 1, v40
	v_fma_f32 v41, -v37, v40, v36
	v_mul_f32_e32 v42, 0x37800000, v35
	v_fma_f32 v43, -v39, v40, v36
	v_cmp_ge_f32_e64 s33, 0, v41
	v_cndmask_b32_e32 v35, v35, v42, vcc_lo
	v_cmp_class_f32_e64 vcc_lo, v34, 0x260
	v_cndmask_b32_e64 v37, v40, v37, s33
	v_cmp_lt_f32_e64 s33, 0, v43
	v_cndmask_b32_e32 v34, v35, v34, vcc_lo
	v_cndmask_b32_e64 v37, v37, v39, s33
	v_cmp_nge_f32_e32 vcc_lo, 1.0, v34
	v_mul_f32_e32 v35, 0x37800000, v37
	v_cndmask_b32_e32 v29, v38, v29, vcc_lo
	v_cmp_class_f32_e64 vcc_lo, v36, 0x260
	v_cndmask_b32_e64 v34, v37, v35, s31
	v_add_f32_e32 v35, 1.0, v29
	v_cndmask_b32_e32 v34, v34, v36, vcc_lo
	v_cmp_nge_f32_e32 vcc_lo, 1.0, v34
	v_cndmask_b32_e32 v29, v35, v29, vcc_lo
	s_cbranch_scc1 .LBB35_230
; %bb.231:
	v_mul_f32_e32 v29, 4.0, v29
	v_div_scale_f32 v33, null, 0x461c4000, 0x461c4000, v29
	v_rcp_f32_e32 v34, v33
	v_fma_f32 v35, -v33, v34, 1.0
	v_fmac_f32_e32 v34, v35, v34
	v_div_scale_f32 v35, vcc_lo, v29, 0x461c4000, v29
	v_mul_f32_e32 v36, v35, v34
	v_fma_f32 v37, -v33, v36, v35
	v_fmac_f32_e32 v36, v37, v34
	v_fma_f32 v33, -v33, v36, v35
	v_div_fmas_f32 v33, v33, v34, v36
	v_div_fixup_f32 v29, v33, 0x461c4000, v29
.LBB35_232:
	s_or_b32 exec_lo, exec_lo, s34
	v_or_b32_e32 v33, 0x1c00, v0
	v_cmp_gt_u32_e64 s31, s45, v33
	s_and_saveexec_b32 s35, s31
	s_cbranch_execz .LBB35_236
; %bb.233:
	v_add_nc_u32_e32 v30, s37, v33
	s_movk_i32 s36, 0x2710
	v_lshlrev_b32_e32 v33, 12, v30
	v_add3_u32 v30, v30, v33, 0x7ed55d16
	v_lshrrev_b32_e32 v33, 19, v30
	v_xor3_b32 v30, v30, v33, 0xc761c23c
	v_lshl_add_u32 v30, v30, 5, v30
	v_add_nc_u32_e32 v33, 0xe9f8cc1d, v30
	v_lshl_add_u32 v30, v30, 9, 0xaccf6200
	v_xor_b32_e32 v30, v33, v30
	v_lshlrev_b32_e32 v33, 3, v30
	v_add3_u32 v30, v30, v33, 0xfd7046c5
	v_lshrrev_b32_e32 v33, 16, v30
	v_xor3_b32 v30, v30, v33, 0xb55a4f09
	v_mul_hi_u32 v33, v30, 3
	v_sub_nc_u32_e32 v34, v30, v33
	v_lshrrev_b32_e32 v34, 1, v34
	v_add_nc_u32_e32 v33, v34, v33
	v_lshrrev_b32_e32 v33, 30, v33
	v_mul_lo_u32 v33, 0x7fffffff, v33
	v_sub_nc_u32_e32 v30, v30, v33
	v_max_u32_e32 v33, 1, v30
	v_mov_b32_e32 v30, 0
.LBB35_234:                             ; =>This Inner Loop Header: Depth=1
	v_mul_hi_u32 v34, 0xbc8f1391, v33
	s_add_i32 s36, s36, -2
	s_cmp_lg_u32 s36, 0
	v_lshrrev_b32_e32 v34, 15, v34
	v_mul_u32_u24_e32 v35, 0xadc8, v34
	v_mul_u32_u24_e32 v34, 0xd47, v34
	v_sub_nc_u32_e32 v33, v33, v35
	v_xor_b32_e32 v35, 0x7fffffff, v34
	v_sub_nc_u32_e32 v36, 0, v34
	v_mul_lo_u32 v33, 0xbc8f, v33
	v_cmp_lt_u32_e32 vcc_lo, v33, v34
	v_cndmask_b32_e32 v34, v36, v35, vcc_lo
	v_add_nc_u32_e32 v33, v34, v33
	v_mul_hi_u32 v34, 0xbc8f1391, v33
	v_lshrrev_b32_e32 v34, 15, v34
	v_mul_u32_u24_e32 v35, 0xadc8, v34
	v_mul_u32_u24_e32 v34, 0xd47, v34
	v_sub_nc_u32_e32 v35, v33, v35
	v_xor_b32_e32 v36, 0x7fffffff, v34
	v_sub_nc_u32_e32 v37, 0, v34
	v_add_nc_u32_e32 v33, -1, v33
	v_mul_lo_u32 v35, 0xbc8f, v35
	v_cvt_f32_u32_e32 v33, v33
	v_cmp_lt_u32_e32 vcc_lo, v35, v34
	v_cndmask_b32_e32 v34, v37, v36, vcc_lo
	v_add_nc_u32_e32 v34, v34, v35
	v_mul_hi_u32 v35, 0xbc8f1391, v34
	v_lshrrev_b32_e32 v35, 15, v35
	v_mul_u32_u24_e32 v36, 0xadc8, v35
	v_mul_u32_u24_e32 v35, 0xd47, v35
	v_sub_nc_u32_e32 v36, v34, v36
	v_xor_b32_e32 v37, 0x7fffffff, v35
	v_sub_nc_u32_e32 v38, 0, v35
	v_add_nc_u32_e32 v34, -1, v34
	v_mul_lo_u32 v36, 0xbc8f, v36
	v_cvt_f32_u32_e32 v34, v34
	v_fma_f32 v34, 0x30000000, v34, 0
	v_cmp_lt_u32_e32 vcc_lo, v36, v35
	v_mul_f32_e32 v34, v34, v34
	v_cndmask_b32_e32 v35, v38, v37, vcc_lo
	v_fma_f32 v37, 0x30000000, v33, 0
	v_add_nc_u32_e32 v35, v35, v36
	v_fmac_f32_e32 v34, v37, v37
	v_mul_hi_u32 v36, 0xbc8f1391, v35
	v_mul_f32_e32 v37, 0x4f800000, v34
	v_lshrrev_b32_e32 v33, 15, v36
	v_mul_u32_u24_e32 v36, 0xadc8, v33
	v_mul_u32_u24_e32 v33, 0xd47, v33
	v_sub_nc_u32_e32 v36, v35, v36
	v_xor_b32_e32 v38, 0x7fffffff, v33
	v_sub_nc_u32_e32 v39, 0, v33
	v_add_nc_u32_e32 v35, -1, v35
	v_mul_lo_u32 v36, 0xbc8f, v36
	v_cvt_f32_u32_e32 v35, v35
	v_fma_f32 v35, 0x30000000, v35, 0
	v_cmp_lt_u32_e32 vcc_lo, v36, v33
	v_cndmask_b32_e32 v33, v39, v38, vcc_lo
	v_cmp_gt_f32_e32 vcc_lo, 0xf800000, v34
	v_add_f32_e32 v38, 1.0, v30
	v_add_nc_u32_e32 v33, v33, v36
	v_cndmask_b32_e32 v34, v34, v37, vcc_lo
	v_add_nc_u32_e32 v36, -1, v33
	v_cvt_f32_u32_e32 v36, v36
	v_fma_f32 v36, 0x30000000, v36, 0
	v_mul_f32_e32 v36, v36, v36
	v_fmac_f32_e32 v36, v35, v35
	v_sqrt_f32_e32 v35, v34
	v_mul_f32_e32 v37, 0x4f800000, v36
	v_cmp_gt_f32_e64 s33, 0xf800000, v36
	v_cndmask_b32_e64 v36, v36, v37, s33
	v_add_nc_u32_e32 v37, -1, v35
	v_add_nc_u32_e32 v39, 1, v35
	v_sqrt_f32_e32 v40, v36
	v_fma_f32 v41, -v37, v35, v34
	v_fma_f32 v42, -v39, v35, v34
	v_cmp_ge_f32_e64 s34, 0, v41
	v_cndmask_b32_e64 v35, v35, v37, s34
	v_cmp_lt_f32_e64 s34, 0, v42
	v_add_nc_u32_e32 v37, -1, v40
	v_cndmask_b32_e64 v35, v35, v39, s34
	v_add_nc_u32_e32 v39, 1, v40
	v_fma_f32 v41, -v37, v40, v36
	v_mul_f32_e32 v42, 0x37800000, v35
	v_fma_f32 v43, -v39, v40, v36
	v_cmp_ge_f32_e64 s34, 0, v41
	v_cndmask_b32_e32 v35, v35, v42, vcc_lo
	v_cmp_class_f32_e64 vcc_lo, v34, 0x260
	v_cndmask_b32_e64 v37, v40, v37, s34
	v_cmp_lt_f32_e64 s34, 0, v43
	v_cndmask_b32_e32 v34, v35, v34, vcc_lo
	v_cndmask_b32_e64 v37, v37, v39, s34
	v_cmp_nge_f32_e32 vcc_lo, 1.0, v34
	v_mul_f32_e32 v35, 0x37800000, v37
	v_cndmask_b32_e32 v30, v38, v30, vcc_lo
	v_cmp_class_f32_e64 vcc_lo, v36, 0x260
	v_cndmask_b32_e64 v34, v37, v35, s33
	v_add_f32_e32 v35, 1.0, v30
	v_cndmask_b32_e32 v34, v34, v36, vcc_lo
	v_cmp_nge_f32_e32 vcc_lo, 1.0, v34
	v_cndmask_b32_e32 v30, v35, v30, vcc_lo
	s_cbranch_scc1 .LBB35_234
; %bb.235:
	v_mul_f32_e32 v30, 4.0, v30
	v_div_scale_f32 v33, null, 0x461c4000, 0x461c4000, v30
	v_rcp_f32_e32 v34, v33
	v_fma_f32 v35, -v33, v34, 1.0
	v_fmac_f32_e32 v34, v35, v34
	v_div_scale_f32 v35, vcc_lo, v30, 0x461c4000, v30
	v_mul_f32_e32 v36, v35, v34
	v_fma_f32 v37, -v33, v36, v35
	v_fmac_f32_e32 v36, v37, v34
	v_fma_f32 v33, -v33, v36, v35
	v_div_fmas_f32 v33, v33, v34, v36
	v_div_fixup_f32 v30, v33, 0x461c4000, v30
.LBB35_236:
	s_or_b32 exec_lo, exec_lo, s35
	v_or_b32_e32 v33, 0x1d00, v0
	v_cmp_gt_u32_e64 s33, s45, v33
	s_and_saveexec_b32 s36, s33
	s_cbranch_execz .LBB35_240
; %bb.237:
	v_add_nc_u32_e32 v31, s37, v33
	s_movk_i32 s46, 0x2710
	v_lshlrev_b32_e32 v33, 12, v31
	v_add3_u32 v31, v31, v33, 0x7ed55d16
	v_lshrrev_b32_e32 v33, 19, v31
	v_xor3_b32 v31, v31, v33, 0xc761c23c
	v_lshl_add_u32 v31, v31, 5, v31
	v_add_nc_u32_e32 v33, 0xe9f8cc1d, v31
	v_lshl_add_u32 v31, v31, 9, 0xaccf6200
	v_xor_b32_e32 v31, v33, v31
	v_lshlrev_b32_e32 v33, 3, v31
	v_add3_u32 v31, v31, v33, 0xfd7046c5
	v_lshrrev_b32_e32 v33, 16, v31
	v_xor3_b32 v31, v31, v33, 0xb55a4f09
	v_mul_hi_u32 v33, v31, 3
	v_sub_nc_u32_e32 v34, v31, v33
	v_lshrrev_b32_e32 v34, 1, v34
	v_add_nc_u32_e32 v33, v34, v33
	v_lshrrev_b32_e32 v33, 30, v33
	v_mul_lo_u32 v33, 0x7fffffff, v33
	v_sub_nc_u32_e32 v31, v31, v33
	v_max_u32_e32 v33, 1, v31
	v_mov_b32_e32 v31, 0
.LBB35_238:                             ; =>This Inner Loop Header: Depth=1
	v_mul_hi_u32 v34, 0xbc8f1391, v33
	s_add_i32 s46, s46, -2
	s_cmp_lg_u32 s46, 0
	v_lshrrev_b32_e32 v34, 15, v34
	v_mul_u32_u24_e32 v35, 0xadc8, v34
	v_mul_u32_u24_e32 v34, 0xd47, v34
	v_sub_nc_u32_e32 v33, v33, v35
	v_xor_b32_e32 v35, 0x7fffffff, v34
	v_sub_nc_u32_e32 v36, 0, v34
	v_mul_lo_u32 v33, 0xbc8f, v33
	v_cmp_lt_u32_e32 vcc_lo, v33, v34
	v_cndmask_b32_e32 v34, v36, v35, vcc_lo
	v_add_nc_u32_e32 v33, v34, v33
	v_mul_hi_u32 v34, 0xbc8f1391, v33
	v_lshrrev_b32_e32 v34, 15, v34
	v_mul_u32_u24_e32 v35, 0xadc8, v34
	v_mul_u32_u24_e32 v34, 0xd47, v34
	v_sub_nc_u32_e32 v35, v33, v35
	v_xor_b32_e32 v36, 0x7fffffff, v34
	v_sub_nc_u32_e32 v37, 0, v34
	v_add_nc_u32_e32 v33, -1, v33
	v_mul_lo_u32 v35, 0xbc8f, v35
	v_cvt_f32_u32_e32 v33, v33
	v_cmp_lt_u32_e32 vcc_lo, v35, v34
	v_cndmask_b32_e32 v34, v37, v36, vcc_lo
	v_add_nc_u32_e32 v34, v34, v35
	v_mul_hi_u32 v35, 0xbc8f1391, v34
	v_lshrrev_b32_e32 v35, 15, v35
	v_mul_u32_u24_e32 v36, 0xadc8, v35
	v_mul_u32_u24_e32 v35, 0xd47, v35
	v_sub_nc_u32_e32 v36, v34, v36
	v_xor_b32_e32 v37, 0x7fffffff, v35
	v_sub_nc_u32_e32 v38, 0, v35
	v_add_nc_u32_e32 v34, -1, v34
	v_mul_lo_u32 v36, 0xbc8f, v36
	v_cvt_f32_u32_e32 v34, v34
	v_fma_f32 v34, 0x30000000, v34, 0
	v_cmp_lt_u32_e32 vcc_lo, v36, v35
	v_mul_f32_e32 v34, v34, v34
	v_cndmask_b32_e32 v35, v38, v37, vcc_lo
	v_fma_f32 v37, 0x30000000, v33, 0
	v_add_nc_u32_e32 v35, v35, v36
	v_fmac_f32_e32 v34, v37, v37
	v_mul_hi_u32 v36, 0xbc8f1391, v35
	v_mul_f32_e32 v37, 0x4f800000, v34
	v_lshrrev_b32_e32 v33, 15, v36
	v_mul_u32_u24_e32 v36, 0xadc8, v33
	v_mul_u32_u24_e32 v33, 0xd47, v33
	v_sub_nc_u32_e32 v36, v35, v36
	v_xor_b32_e32 v38, 0x7fffffff, v33
	v_sub_nc_u32_e32 v39, 0, v33
	v_add_nc_u32_e32 v35, -1, v35
	v_mul_lo_u32 v36, 0xbc8f, v36
	v_cvt_f32_u32_e32 v35, v35
	v_fma_f32 v35, 0x30000000, v35, 0
	v_cmp_lt_u32_e32 vcc_lo, v36, v33
	v_cndmask_b32_e32 v33, v39, v38, vcc_lo
	v_cmp_gt_f32_e32 vcc_lo, 0xf800000, v34
	v_add_f32_e32 v38, 1.0, v31
	v_add_nc_u32_e32 v33, v33, v36
	v_cndmask_b32_e32 v34, v34, v37, vcc_lo
	v_add_nc_u32_e32 v36, -1, v33
	v_cvt_f32_u32_e32 v36, v36
	v_fma_f32 v36, 0x30000000, v36, 0
	v_mul_f32_e32 v36, v36, v36
	v_fmac_f32_e32 v36, v35, v35
	v_sqrt_f32_e32 v35, v34
	v_mul_f32_e32 v37, 0x4f800000, v36
	v_cmp_gt_f32_e64 s34, 0xf800000, v36
	v_cndmask_b32_e64 v36, v36, v37, s34
	v_add_nc_u32_e32 v37, -1, v35
	v_add_nc_u32_e32 v39, 1, v35
	v_sqrt_f32_e32 v40, v36
	v_fma_f32 v41, -v37, v35, v34
	v_fma_f32 v42, -v39, v35, v34
	v_cmp_ge_f32_e64 s35, 0, v41
	v_cndmask_b32_e64 v35, v35, v37, s35
	v_cmp_lt_f32_e64 s35, 0, v42
	v_add_nc_u32_e32 v37, -1, v40
	v_cndmask_b32_e64 v35, v35, v39, s35
	v_add_nc_u32_e32 v39, 1, v40
	v_fma_f32 v41, -v37, v40, v36
	v_mul_f32_e32 v42, 0x37800000, v35
	v_fma_f32 v43, -v39, v40, v36
	v_cmp_ge_f32_e64 s35, 0, v41
	v_cndmask_b32_e32 v35, v35, v42, vcc_lo
	v_cmp_class_f32_e64 vcc_lo, v34, 0x260
	v_cndmask_b32_e64 v37, v40, v37, s35
	v_cmp_lt_f32_e64 s35, 0, v43
	v_cndmask_b32_e32 v34, v35, v34, vcc_lo
	v_cndmask_b32_e64 v37, v37, v39, s35
	v_cmp_nge_f32_e32 vcc_lo, 1.0, v34
	v_mul_f32_e32 v35, 0x37800000, v37
	v_cndmask_b32_e32 v31, v38, v31, vcc_lo
	v_cmp_class_f32_e64 vcc_lo, v36, 0x260
	v_cndmask_b32_e64 v34, v37, v35, s34
	v_add_f32_e32 v35, 1.0, v31
	v_cndmask_b32_e32 v34, v34, v36, vcc_lo
	v_cmp_nge_f32_e32 vcc_lo, 1.0, v34
	v_cndmask_b32_e32 v31, v35, v31, vcc_lo
	s_cbranch_scc1 .LBB35_238
; %bb.239:
	v_mul_f32_e32 v31, 4.0, v31
	v_div_scale_f32 v33, null, 0x461c4000, 0x461c4000, v31
	v_rcp_f32_e32 v34, v33
	v_fma_f32 v35, -v33, v34, 1.0
	v_fmac_f32_e32 v34, v35, v34
	v_div_scale_f32 v35, vcc_lo, v31, 0x461c4000, v31
	v_mul_f32_e32 v36, v35, v34
	v_fma_f32 v37, -v33, v36, v35
	v_fmac_f32_e32 v36, v37, v34
	v_fma_f32 v33, -v33, v36, v35
	v_div_fmas_f32 v33, v33, v34, v36
	v_div_fixup_f32 v31, v33, 0x461c4000, v31
.LBB35_240:
	s_or_b32 exec_lo, exec_lo, s36
	v_or_b32_e32 v33, 0x1e00, v0
	v_cmp_gt_u32_e64 s34, s45, v33
	s_and_saveexec_b32 s46, s34
	s_cbranch_execz .LBB35_244
; %bb.241:
	v_add_nc_u32_e32 v32, s37, v33
	s_movk_i32 s47, 0x2710
	v_lshlrev_b32_e32 v33, 12, v32
	v_add3_u32 v32, v32, v33, 0x7ed55d16
	v_lshrrev_b32_e32 v33, 19, v32
	v_xor3_b32 v32, v32, v33, 0xc761c23c
	v_lshl_add_u32 v32, v32, 5, v32
	v_add_nc_u32_e32 v33, 0xe9f8cc1d, v32
	v_lshl_add_u32 v32, v32, 9, 0xaccf6200
	v_xor_b32_e32 v32, v33, v32
	v_lshlrev_b32_e32 v33, 3, v32
	v_add3_u32 v32, v32, v33, 0xfd7046c5
	v_lshrrev_b32_e32 v33, 16, v32
	v_xor3_b32 v32, v32, v33, 0xb55a4f09
	v_mul_hi_u32 v33, v32, 3
	v_sub_nc_u32_e32 v34, v32, v33
	v_lshrrev_b32_e32 v34, 1, v34
	v_add_nc_u32_e32 v33, v34, v33
	v_lshrrev_b32_e32 v33, 30, v33
	v_mul_lo_u32 v33, 0x7fffffff, v33
	v_sub_nc_u32_e32 v32, v32, v33
	v_max_u32_e32 v33, 1, v32
	v_mov_b32_e32 v32, 0
.LBB35_242:                             ; =>This Inner Loop Header: Depth=1
	v_mul_hi_u32 v34, 0xbc8f1391, v33
	s_add_i32 s47, s47, -2
	s_cmp_lg_u32 s47, 0
	v_lshrrev_b32_e32 v34, 15, v34
	v_mul_u32_u24_e32 v35, 0xadc8, v34
	v_mul_u32_u24_e32 v34, 0xd47, v34
	v_sub_nc_u32_e32 v33, v33, v35
	v_xor_b32_e32 v35, 0x7fffffff, v34
	v_sub_nc_u32_e32 v36, 0, v34
	v_mul_lo_u32 v33, 0xbc8f, v33
	v_cmp_lt_u32_e32 vcc_lo, v33, v34
	v_cndmask_b32_e32 v34, v36, v35, vcc_lo
	v_add_nc_u32_e32 v33, v34, v33
	v_mul_hi_u32 v34, 0xbc8f1391, v33
	v_lshrrev_b32_e32 v34, 15, v34
	v_mul_u32_u24_e32 v35, 0xadc8, v34
	v_mul_u32_u24_e32 v34, 0xd47, v34
	v_sub_nc_u32_e32 v35, v33, v35
	v_xor_b32_e32 v36, 0x7fffffff, v34
	v_sub_nc_u32_e32 v37, 0, v34
	v_add_nc_u32_e32 v33, -1, v33
	v_mul_lo_u32 v35, 0xbc8f, v35
	v_cvt_f32_u32_e32 v33, v33
	v_cmp_lt_u32_e32 vcc_lo, v35, v34
	v_cndmask_b32_e32 v34, v37, v36, vcc_lo
	v_add_nc_u32_e32 v34, v34, v35
	v_mul_hi_u32 v35, 0xbc8f1391, v34
	v_lshrrev_b32_e32 v35, 15, v35
	v_mul_u32_u24_e32 v36, 0xadc8, v35
	v_mul_u32_u24_e32 v35, 0xd47, v35
	v_sub_nc_u32_e32 v36, v34, v36
	v_xor_b32_e32 v37, 0x7fffffff, v35
	v_sub_nc_u32_e32 v38, 0, v35
	v_add_nc_u32_e32 v34, -1, v34
	v_mul_lo_u32 v36, 0xbc8f, v36
	v_cvt_f32_u32_e32 v34, v34
	v_fma_f32 v34, 0x30000000, v34, 0
	v_cmp_lt_u32_e32 vcc_lo, v36, v35
	v_mul_f32_e32 v34, v34, v34
	v_cndmask_b32_e32 v35, v38, v37, vcc_lo
	v_fma_f32 v37, 0x30000000, v33, 0
	v_add_nc_u32_e32 v35, v35, v36
	v_fmac_f32_e32 v34, v37, v37
	v_mul_hi_u32 v36, 0xbc8f1391, v35
	v_mul_f32_e32 v37, 0x4f800000, v34
	v_lshrrev_b32_e32 v33, 15, v36
	v_mul_u32_u24_e32 v36, 0xadc8, v33
	v_mul_u32_u24_e32 v33, 0xd47, v33
	v_sub_nc_u32_e32 v36, v35, v36
	v_xor_b32_e32 v38, 0x7fffffff, v33
	v_sub_nc_u32_e32 v39, 0, v33
	v_add_nc_u32_e32 v35, -1, v35
	v_mul_lo_u32 v36, 0xbc8f, v36
	v_cvt_f32_u32_e32 v35, v35
	v_fma_f32 v35, 0x30000000, v35, 0
	v_cmp_lt_u32_e32 vcc_lo, v36, v33
	v_cndmask_b32_e32 v33, v39, v38, vcc_lo
	v_cmp_gt_f32_e32 vcc_lo, 0xf800000, v34
	v_add_f32_e32 v38, 1.0, v32
	v_add_nc_u32_e32 v33, v33, v36
	v_cndmask_b32_e32 v34, v34, v37, vcc_lo
	v_add_nc_u32_e32 v36, -1, v33
	v_cvt_f32_u32_e32 v36, v36
	v_fma_f32 v36, 0x30000000, v36, 0
	v_mul_f32_e32 v36, v36, v36
	v_fmac_f32_e32 v36, v35, v35
	v_sqrt_f32_e32 v35, v34
	v_mul_f32_e32 v37, 0x4f800000, v36
	v_cmp_gt_f32_e64 s35, 0xf800000, v36
	v_cndmask_b32_e64 v36, v36, v37, s35
	v_add_nc_u32_e32 v37, -1, v35
	v_add_nc_u32_e32 v39, 1, v35
	v_sqrt_f32_e32 v40, v36
	v_fma_f32 v41, -v37, v35, v34
	v_fma_f32 v42, -v39, v35, v34
	v_cmp_ge_f32_e64 s36, 0, v41
	v_cndmask_b32_e64 v35, v35, v37, s36
	v_cmp_lt_f32_e64 s36, 0, v42
	v_add_nc_u32_e32 v37, -1, v40
	v_cndmask_b32_e64 v35, v35, v39, s36
	v_add_nc_u32_e32 v39, 1, v40
	v_fma_f32 v41, -v37, v40, v36
	v_mul_f32_e32 v42, 0x37800000, v35
	v_fma_f32 v43, -v39, v40, v36
	v_cmp_ge_f32_e64 s36, 0, v41
	v_cndmask_b32_e32 v35, v35, v42, vcc_lo
	v_cmp_class_f32_e64 vcc_lo, v34, 0x260
	v_cndmask_b32_e64 v37, v40, v37, s36
	v_cmp_lt_f32_e64 s36, 0, v43
	v_cndmask_b32_e32 v34, v35, v34, vcc_lo
	v_cndmask_b32_e64 v37, v37, v39, s36
	v_cmp_nge_f32_e32 vcc_lo, 1.0, v34
	v_mul_f32_e32 v35, 0x37800000, v37
	v_cndmask_b32_e32 v32, v38, v32, vcc_lo
	v_cmp_class_f32_e64 vcc_lo, v36, 0x260
	v_cndmask_b32_e64 v34, v37, v35, s35
	v_add_f32_e32 v35, 1.0, v32
	v_cndmask_b32_e32 v34, v34, v36, vcc_lo
	v_cmp_nge_f32_e32 vcc_lo, 1.0, v34
	v_cndmask_b32_e32 v32, v35, v32, vcc_lo
	s_cbranch_scc1 .LBB35_242
; %bb.243:
	v_mul_f32_e32 v32, 4.0, v32
	v_div_scale_f32 v33, null, 0x461c4000, 0x461c4000, v32
	v_rcp_f32_e32 v34, v33
	v_fma_f32 v35, -v33, v34, 1.0
	v_fmac_f32_e32 v34, v35, v34
	v_div_scale_f32 v35, vcc_lo, v32, 0x461c4000, v32
	v_mul_f32_e32 v36, v35, v34
	v_fma_f32 v37, -v33, v36, v35
	v_fmac_f32_e32 v36, v37, v34
	v_fma_f32 v33, -v33, v36, v35
	v_div_fmas_f32 v33, v33, v34, v36
	v_div_fixup_f32 v32, v33, 0x461c4000, v32
.LBB35_244:
	s_or_b32 exec_lo, exec_lo, s46
	v_or_b32_e32 v33, 0x1f00, v0
	v_cmp_gt_u32_e64 s35, s45, v33
	s_and_saveexec_b32 s46, s35
	s_cbranch_execz .LBB35_248
; %bb.245:
	v_add_nc_u32_e32 v3, s37, v33
	s_movk_i32 s47, 0x2710
	v_lshlrev_b32_e32 v33, 12, v3
	v_add3_u32 v3, v3, v33, 0x7ed55d16
	v_lshrrev_b32_e32 v33, 19, v3
	v_xor3_b32 v3, v3, v33, 0xc761c23c
	v_lshl_add_u32 v3, v3, 5, v3
	v_add_nc_u32_e32 v33, 0xe9f8cc1d, v3
	v_lshl_add_u32 v3, v3, 9, 0xaccf6200
	v_xor_b32_e32 v3, v33, v3
	v_lshlrev_b32_e32 v33, 3, v3
	v_add3_u32 v3, v3, v33, 0xfd7046c5
	v_lshrrev_b32_e32 v33, 16, v3
	v_xor3_b32 v3, v3, v33, 0xb55a4f09
	v_mul_hi_u32 v33, v3, 3
	v_sub_nc_u32_e32 v34, v3, v33
	v_lshrrev_b32_e32 v34, 1, v34
	v_add_nc_u32_e32 v33, v34, v33
	v_lshrrev_b32_e32 v33, 30, v33
	v_mul_lo_u32 v33, 0x7fffffff, v33
	v_sub_nc_u32_e32 v3, v3, v33
	v_max_u32_e32 v33, 1, v3
	v_mov_b32_e32 v3, 0
.LBB35_246:                             ; =>This Inner Loop Header: Depth=1
	v_mul_hi_u32 v34, 0xbc8f1391, v33
	s_add_i32 s47, s47, -2
	s_cmp_lg_u32 s47, 0
	v_lshrrev_b32_e32 v34, 15, v34
	v_mul_u32_u24_e32 v35, 0xadc8, v34
	v_mul_u32_u24_e32 v34, 0xd47, v34
	v_sub_nc_u32_e32 v33, v33, v35
	v_xor_b32_e32 v35, 0x7fffffff, v34
	v_sub_nc_u32_e32 v36, 0, v34
	v_mul_lo_u32 v33, 0xbc8f, v33
	v_cmp_lt_u32_e32 vcc_lo, v33, v34
	v_cndmask_b32_e32 v34, v36, v35, vcc_lo
	v_add_nc_u32_e32 v33, v34, v33
	v_mul_hi_u32 v34, 0xbc8f1391, v33
	v_lshrrev_b32_e32 v34, 15, v34
	v_mul_u32_u24_e32 v35, 0xadc8, v34
	v_mul_u32_u24_e32 v34, 0xd47, v34
	v_sub_nc_u32_e32 v35, v33, v35
	v_xor_b32_e32 v36, 0x7fffffff, v34
	v_sub_nc_u32_e32 v37, 0, v34
	v_add_nc_u32_e32 v33, -1, v33
	v_mul_lo_u32 v35, 0xbc8f, v35
	v_cvt_f32_u32_e32 v33, v33
	v_cmp_lt_u32_e32 vcc_lo, v35, v34
	v_cndmask_b32_e32 v34, v37, v36, vcc_lo
	v_add_nc_u32_e32 v34, v34, v35
	v_mul_hi_u32 v35, 0xbc8f1391, v34
	v_lshrrev_b32_e32 v35, 15, v35
	v_mul_u32_u24_e32 v36, 0xadc8, v35
	v_mul_u32_u24_e32 v35, 0xd47, v35
	v_sub_nc_u32_e32 v36, v34, v36
	v_xor_b32_e32 v37, 0x7fffffff, v35
	v_sub_nc_u32_e32 v38, 0, v35
	v_add_nc_u32_e32 v34, -1, v34
	v_mul_lo_u32 v36, 0xbc8f, v36
	v_cvt_f32_u32_e32 v34, v34
	v_fma_f32 v34, 0x30000000, v34, 0
	v_cmp_lt_u32_e32 vcc_lo, v36, v35
	v_mul_f32_e32 v34, v34, v34
	v_cndmask_b32_e32 v35, v38, v37, vcc_lo
	v_fma_f32 v37, 0x30000000, v33, 0
	v_add_nc_u32_e32 v35, v35, v36
	v_fmac_f32_e32 v34, v37, v37
	v_mul_hi_u32 v36, 0xbc8f1391, v35
	v_mul_f32_e32 v37, 0x4f800000, v34
	v_lshrrev_b32_e32 v33, 15, v36
	v_mul_u32_u24_e32 v36, 0xadc8, v33
	v_mul_u32_u24_e32 v33, 0xd47, v33
	v_sub_nc_u32_e32 v36, v35, v36
	v_xor_b32_e32 v38, 0x7fffffff, v33
	v_sub_nc_u32_e32 v39, 0, v33
	v_add_nc_u32_e32 v35, -1, v35
	v_mul_lo_u32 v36, 0xbc8f, v36
	v_cvt_f32_u32_e32 v35, v35
	v_fma_f32 v35, 0x30000000, v35, 0
	v_cmp_lt_u32_e32 vcc_lo, v36, v33
	v_cndmask_b32_e32 v33, v39, v38, vcc_lo
	v_cmp_gt_f32_e32 vcc_lo, 0xf800000, v34
	v_add_f32_e32 v38, 1.0, v3
	v_add_nc_u32_e32 v33, v33, v36
	v_cndmask_b32_e32 v34, v34, v37, vcc_lo
	v_add_nc_u32_e32 v36, -1, v33
	v_cvt_f32_u32_e32 v36, v36
	v_fma_f32 v36, 0x30000000, v36, 0
	v_mul_f32_e32 v36, v36, v36
	v_fmac_f32_e32 v36, v35, v35
	v_sqrt_f32_e32 v35, v34
	v_mul_f32_e32 v37, 0x4f800000, v36
	v_cmp_gt_f32_e64 s36, 0xf800000, v36
	v_cndmask_b32_e64 v36, v36, v37, s36
	v_add_nc_u32_e32 v37, -1, v35
	v_add_nc_u32_e32 v39, 1, v35
	v_sqrt_f32_e32 v40, v36
	v_fma_f32 v41, -v37, v35, v34
	v_fma_f32 v42, -v39, v35, v34
	v_cmp_ge_f32_e64 s37, 0, v41
	v_cndmask_b32_e64 v35, v35, v37, s37
	v_cmp_lt_f32_e64 s37, 0, v42
	v_add_nc_u32_e32 v37, -1, v40
	v_cndmask_b32_e64 v35, v35, v39, s37
	v_add_nc_u32_e32 v39, 1, v40
	v_fma_f32 v41, -v37, v40, v36
	v_mul_f32_e32 v42, 0x37800000, v35
	v_fma_f32 v43, -v39, v40, v36
	v_cmp_ge_f32_e64 s37, 0, v41
	v_cndmask_b32_e32 v35, v35, v42, vcc_lo
	v_cmp_class_f32_e64 vcc_lo, v34, 0x260
	v_cndmask_b32_e64 v37, v40, v37, s37
	v_cmp_lt_f32_e64 s37, 0, v43
	v_cndmask_b32_e32 v34, v35, v34, vcc_lo
	v_cndmask_b32_e64 v37, v37, v39, s37
	v_cmp_nge_f32_e32 vcc_lo, 1.0, v34
	v_mul_f32_e32 v35, 0x37800000, v37
	v_cndmask_b32_e32 v3, v38, v3, vcc_lo
	v_cmp_class_f32_e64 vcc_lo, v36, 0x260
	v_cndmask_b32_e64 v34, v37, v35, s36
	v_add_f32_e32 v35, 1.0, v3
	v_cndmask_b32_e32 v34, v34, v36, vcc_lo
	v_cmp_nge_f32_e32 vcc_lo, 1.0, v34
	v_cndmask_b32_e32 v3, v35, v3, vcc_lo
	s_cbranch_scc1 .LBB35_246
; %bb.247:
	v_mul_f32_e32 v3, 4.0, v3
	v_div_scale_f32 v33, null, 0x461c4000, 0x461c4000, v3
	v_rcp_f32_e32 v34, v33
	v_fma_f32 v35, -v33, v34, 1.0
	v_fmac_f32_e32 v34, v35, v34
	v_div_scale_f32 v35, vcc_lo, v3, 0x461c4000, v3
	v_mul_f32_e32 v36, v35, v34
	v_fma_f32 v37, -v33, v36, v35
	v_fmac_f32_e32 v36, v37, v34
	v_fma_f32 v33, -v33, v36, v35
	v_div_fmas_f32 v33, v33, v34, v36
	v_div_fixup_f32 v3, v33, 0x461c4000, v3
.LBB35_248:
	s_or_b32 exec_lo, exec_lo, s46
	v_add_f32_e32 v2, v1, v2
	v_cndmask_b32_e64 v1, v1, v2, s0
	v_add_f32_e32 v2, v4, v1
	v_cndmask_b32_e64 v1, v1, v2, s1
	s_min_u32 s1, s45, 0x100
	v_add_f32_e32 v2, v5, v1
	v_cndmask_b32_e64 v1, v1, v2, s2
	v_add_f32_e32 v2, v6, v1
	v_cndmask_b32_e64 v1, v1, v2, s3
	;; [unrolled: 2-line block ×27, first 2 shown]
	v_mbcnt_lo_u32_b32 v2, -1, 0
	v_add_f32_e32 v4, v32, v1
	v_cmp_ne_u32_e32 vcc_lo, 31, v2
	v_add_nc_u32_e32 v6, 1, v2
	v_cmp_gt_u32_e64 s0, 28, v2
	v_add_nc_u32_e32 v7, 2, v2
	v_cndmask_b32_e64 v1, v1, v4, s34
	v_add_co_ci_u32_e64 v4, null, 0, v2, vcc_lo
	v_cmp_gt_u32_e32 vcc_lo, 30, v2
	v_add_f32_e32 v3, v3, v1
	v_lshlrev_b32_e32 v4, 2, v4
	v_cndmask_b32_e64 v5, 0, 2, vcc_lo
	v_cndmask_b32_e64 v1, v1, v3, s35
	v_add_lshl_u32 v5, v5, v2, 2
	ds_bpermute_b32 v3, v4, v1
	v_and_b32_e32 v4, 0xe0, v0
	v_sub_nc_u32_e64 v4, s1, v4 clamp
	v_cmp_lt_u32_e32 vcc_lo, v6, v4
	v_cndmask_b32_e64 v6, 0, 4, s0
	v_cmp_lt_u32_e64 s0, v7, v4
	v_add_nc_u32_e32 v7, 4, v2
	v_add_lshl_u32 v6, v6, v2, 2
	s_waitcnt lgkmcnt(0)
	v_add_f32_e32 v3, v1, v3
	v_cndmask_b32_e32 v3, v1, v3, vcc_lo
	ds_bpermute_b32 v5, v5, v3
	s_waitcnt lgkmcnt(0)
	v_add_f32_e32 v5, v3, v5
	v_cndmask_b32_e64 v3, v3, v5, s0
	v_cmp_gt_u32_e64 s0, 24, v2
	ds_bpermute_b32 v5, v6, v3
	v_cndmask_b32_e64 v6, 0, 8, s0
	v_cmp_lt_u32_e64 s0, v7, v4
	v_add_nc_u32_e32 v7, 8, v2
	v_add_lshl_u32 v6, v6, v2, 2
	s_waitcnt lgkmcnt(0)
	v_add_f32_e32 v5, v3, v5
	v_cndmask_b32_e64 v5, v3, v5, s0
	v_lshlrev_b32_e32 v3, 2, v2
	v_cmp_lt_u32_e64 s0, v7, v4
	v_add_nc_u32_e32 v7, 16, v2
	ds_bpermute_b32 v6, v6, v5
	v_or_b32_e32 v8, 64, v3
	s_waitcnt lgkmcnt(0)
	v_add_f32_e32 v6, v5, v6
	v_cndmask_b32_e64 v5, v5, v6, s0
	v_cmp_lt_u32_e64 s0, v7, v4
	ds_bpermute_b32 v6, v8, v5
	s_waitcnt lgkmcnt(0)
	v_add_f32_e32 v6, v5, v6
	v_cndmask_b32_e64 v4, v5, v6, s0
	s_mov_b32 s0, exec_lo
	v_cndmask_b32_e32 v1, v1, v4, vcc_lo
	v_cmpx_eq_u32_e32 0, v2
; %bb.249:
	v_lshrrev_b32_e32 v4, 3, v0
	v_and_b32_e32 v4, 28, v4
	ds_write_b32 v4, v1 offset:192
; %bb.250:
	s_or_b32 exec_lo, exec_lo, s0
	s_mov_b32 s2, exec_lo
	s_waitcnt lgkmcnt(0)
	s_barrier
	buffer_gl0_inv
	v_cmpx_gt_u32_e32 8, v0
	s_cbranch_execz .LBB35_252
; %bb.251:
	ds_read_b32 v1, v3 offset:192
	v_and_b32_e32 v4, 7, v2
	s_add_i32 s1, s1, 31
	v_or_b32_e32 v3, 16, v3
	s_lshr_b32 s1, s1, 5
	v_cmp_ne_u32_e32 vcc_lo, 7, v4
	v_add_nc_u32_e32 v7, 1, v4
	v_add_co_ci_u32_e64 v5, null, 0, v2, vcc_lo
	v_cmp_gt_u32_e32 vcc_lo, 6, v4
	v_lshlrev_b32_e32 v5, 2, v5
	v_cndmask_b32_e64 v6, 0, 2, vcc_lo
	v_cmp_gt_u32_e32 vcc_lo, s1, v7
	s_waitcnt lgkmcnt(0)
	ds_bpermute_b32 v5, v5, v1
	v_add_lshl_u32 v2, v6, v2, 2
	v_add_nc_u32_e32 v6, 2, v4
	v_add_nc_u32_e32 v4, 4, v4
	v_cmp_gt_u32_e64 s0, s1, v6
	s_waitcnt lgkmcnt(0)
	v_add_f32_e32 v5, v1, v5
	v_cndmask_b32_e32 v5, v1, v5, vcc_lo
	ds_bpermute_b32 v2, v2, v5
	s_waitcnt lgkmcnt(0)
	v_add_f32_e32 v2, v5, v2
	v_cndmask_b32_e64 v2, v5, v2, s0
	v_cmp_gt_u32_e64 s0, s1, v4
	ds_bpermute_b32 v3, v3, v2
	s_waitcnt lgkmcnt(0)
	v_add_f32_e32 v3, v2, v3
	v_cndmask_b32_e64 v2, v2, v3, s0
	v_cndmask_b32_e32 v1, v1, v2, vcc_lo
.LBB35_252:
	s_or_b32 exec_lo, exec_lo, s2
	v_cmp_eq_u32_e64 s0, 0, v0
	s_and_b32 vcc_lo, exec_lo, s44
	s_cbranch_vccnz .LBB35_79
.LBB35_253:
	s_branch .LBB35_350
.LBB35_254:
	s_mov_b32 s0, -1
                                        ; implicit-def: $vgpr1
.LBB35_255:
	s_and_b32 vcc_lo, exec_lo, s0
	s_cbranch_vccz .LBB35_325
; %bb.256:
	v_mov_b32_e32 v1, 0
	s_sub_i32 s21, s40, s8
	s_mov_b32 s2, exec_lo
	v_mov_b32_e32 v3, v1
	v_mov_b32_e32 v4, v1
	;; [unrolled: 1-line block ×15, first 2 shown]
	v_cmpx_gt_u32_e64 s21, v0
	s_cbranch_execz .LBB35_260
; %bb.257:
	v_add_nc_u32_e32 v2, s20, v0
	s_movk_i32 s3, 0x2710
	v_lshlrev_b32_e32 v3, 12, v2
	v_add3_u32 v2, v2, v3, 0x7ed55d16
	v_lshrrev_b32_e32 v3, 19, v2
	v_xor3_b32 v2, v2, v3, 0xc761c23c
	v_lshl_add_u32 v2, v2, 5, v2
	v_add_nc_u32_e32 v3, 0xe9f8cc1d, v2
	v_lshl_add_u32 v2, v2, 9, 0xaccf6200
	v_xor_b32_e32 v2, v3, v2
	v_lshlrev_b32_e32 v3, 3, v2
	v_add3_u32 v2, v2, v3, 0xfd7046c5
	v_lshrrev_b32_e32 v3, 16, v2
	v_xor3_b32 v2, v2, v3, 0xb55a4f09
	v_mul_hi_u32 v3, v2, 3
	v_sub_nc_u32_e32 v4, v2, v3
	v_lshrrev_b32_e32 v4, 1, v4
	v_add_nc_u32_e32 v3, v4, v3
	v_lshrrev_b32_e32 v3, 30, v3
	v_mul_lo_u32 v3, 0x7fffffff, v3
	v_sub_nc_u32_e32 v2, v2, v3
	v_max_u32_e32 v2, 1, v2
.LBB35_258:                             ; =>This Inner Loop Header: Depth=1
	v_mul_hi_u32 v3, 0xbc8f1391, v2
	s_add_i32 s3, s3, -2
	s_cmp_lg_u32 s3, 0
	v_lshrrev_b32_e32 v3, 15, v3
	v_mul_u32_u24_e32 v4, 0xadc8, v3
	v_mul_u32_u24_e32 v3, 0xd47, v3
	v_sub_nc_u32_e32 v2, v2, v4
	v_xor_b32_e32 v4, 0x7fffffff, v3
	v_sub_nc_u32_e32 v5, 0, v3
	v_mul_lo_u32 v2, 0xbc8f, v2
	v_cmp_lt_u32_e32 vcc_lo, v2, v3
	v_cndmask_b32_e32 v3, v5, v4, vcc_lo
	v_add_nc_u32_e32 v2, v3, v2
	v_mul_hi_u32 v3, 0xbc8f1391, v2
	v_lshrrev_b32_e32 v3, 15, v3
	v_mul_u32_u24_e32 v4, 0xadc8, v3
	v_mul_u32_u24_e32 v3, 0xd47, v3
	v_sub_nc_u32_e32 v4, v2, v4
	v_xor_b32_e32 v5, 0x7fffffff, v3
	v_sub_nc_u32_e32 v6, 0, v3
	v_add_nc_u32_e32 v2, -1, v2
	v_mul_lo_u32 v4, 0xbc8f, v4
	v_cvt_f32_u32_e32 v2, v2
	v_cmp_lt_u32_e32 vcc_lo, v4, v3
	v_cndmask_b32_e32 v3, v6, v5, vcc_lo
	v_add_nc_u32_e32 v3, v3, v4
	v_mul_hi_u32 v4, 0xbc8f1391, v3
	v_lshrrev_b32_e32 v4, 15, v4
	v_mul_u32_u24_e32 v5, 0xadc8, v4
	v_mul_u32_u24_e32 v4, 0xd47, v4
	v_sub_nc_u32_e32 v5, v3, v5
	v_xor_b32_e32 v6, 0x7fffffff, v4
	v_sub_nc_u32_e32 v7, 0, v4
	v_add_nc_u32_e32 v3, -1, v3
	v_mul_lo_u32 v5, 0xbc8f, v5
	v_cvt_f32_u32_e32 v3, v3
	v_fma_f32 v3, 0x30000000, v3, 0
	v_cmp_lt_u32_e32 vcc_lo, v5, v4
	v_mul_f32_e32 v3, v3, v3
	v_cndmask_b32_e32 v4, v7, v6, vcc_lo
	v_fma_f32 v6, 0x30000000, v2, 0
	v_add_nc_u32_e32 v4, v4, v5
	v_fmac_f32_e32 v3, v6, v6
	v_mul_hi_u32 v5, 0xbc8f1391, v4
	v_mul_f32_e32 v6, 0x4f800000, v3
	v_lshrrev_b32_e32 v2, 15, v5
	v_mul_u32_u24_e32 v5, 0xadc8, v2
	v_mul_u32_u24_e32 v2, 0xd47, v2
	v_sub_nc_u32_e32 v5, v4, v5
	v_xor_b32_e32 v7, 0x7fffffff, v2
	v_sub_nc_u32_e32 v8, 0, v2
	v_add_nc_u32_e32 v4, -1, v4
	v_mul_lo_u32 v5, 0xbc8f, v5
	v_cvt_f32_u32_e32 v4, v4
	v_fma_f32 v4, 0x30000000, v4, 0
	v_cmp_lt_u32_e32 vcc_lo, v5, v2
	v_cndmask_b32_e32 v2, v8, v7, vcc_lo
	v_cmp_gt_f32_e32 vcc_lo, 0xf800000, v3
	v_add_f32_e32 v7, 1.0, v1
	v_add_nc_u32_e32 v2, v2, v5
	v_cndmask_b32_e32 v3, v3, v6, vcc_lo
	v_add_nc_u32_e32 v5, -1, v2
	v_cvt_f32_u32_e32 v5, v5
	v_fma_f32 v5, 0x30000000, v5, 0
	v_mul_f32_e32 v5, v5, v5
	v_fmac_f32_e32 v5, v4, v4
	v_sqrt_f32_e32 v4, v3
	v_mul_f32_e32 v6, 0x4f800000, v5
	v_cmp_gt_f32_e64 s0, 0xf800000, v5
	v_cndmask_b32_e64 v5, v5, v6, s0
	v_add_nc_u32_e32 v6, -1, v4
	v_add_nc_u32_e32 v8, 1, v4
	v_sqrt_f32_e32 v9, v5
	v_fma_f32 v10, -v6, v4, v3
	v_fma_f32 v11, -v8, v4, v3
	v_cmp_ge_f32_e64 s1, 0, v10
	v_cndmask_b32_e64 v4, v4, v6, s1
	v_cmp_lt_f32_e64 s1, 0, v11
	v_add_nc_u32_e32 v6, -1, v9
	v_cndmask_b32_e64 v4, v4, v8, s1
	v_add_nc_u32_e32 v8, 1, v9
	v_fma_f32 v10, -v6, v9, v5
	v_mul_f32_e32 v11, 0x37800000, v4
	v_fma_f32 v12, -v8, v9, v5
	v_cmp_ge_f32_e64 s1, 0, v10
	v_cndmask_b32_e32 v4, v4, v11, vcc_lo
	v_cmp_class_f32_e64 vcc_lo, v3, 0x260
	v_cndmask_b32_e64 v6, v9, v6, s1
	v_cmp_lt_f32_e64 s1, 0, v12
	v_cndmask_b32_e32 v3, v4, v3, vcc_lo
	v_cndmask_b32_e64 v6, v6, v8, s1
	v_cmp_nge_f32_e32 vcc_lo, 1.0, v3
	v_mul_f32_e32 v4, 0x37800000, v6
	v_cndmask_b32_e32 v1, v7, v1, vcc_lo
	v_cmp_class_f32_e64 vcc_lo, v5, 0x260
	v_cndmask_b32_e64 v3, v6, v4, s0
	v_add_f32_e32 v4, 1.0, v1
	v_cndmask_b32_e32 v3, v3, v5, vcc_lo
	v_cmp_nge_f32_e32 vcc_lo, 1.0, v3
	v_cndmask_b32_e32 v1, v4, v1, vcc_lo
	s_cbranch_scc1 .LBB35_258
; %bb.259:
	v_mul_f32_e32 v1, 4.0, v1
	v_div_scale_f32 v2, null, 0x461c4000, 0x461c4000, v1
	v_div_scale_f32 v11, vcc_lo, v1, 0x461c4000, v1
	v_rcp_f32_e32 v13, v2
	v_fma_f32 v3, -v2, v13, 1.0
	v_fmac_f32_e32 v13, v3, v13
	v_mov_b32_e32 v3, 0
	v_mul_f32_e32 v14, v11, v13
	v_mov_b32_e32 v4, v3
	v_mov_b32_e32 v5, v3
	;; [unrolled: 1-line block ×4, first 2 shown]
	v_fma_f32 v7, -v2, v14, v11
	v_mov_b32_e32 v9, v3
	v_mov_b32_e32 v10, v3
	;; [unrolled: 1-line block ×4, first 2 shown]
	v_fmac_f32_e32 v14, v7, v13
	v_mov_b32_e32 v7, v3
	v_mov_b32_e32 v16, v3
	v_fma_f32 v2, -v2, v14, v11
	v_mov_b32_e32 v11, v3
	v_div_fmas_f32 v2, v2, v13, v14
	v_mov_b32_e32 v13, v3
	v_mov_b32_e32 v14, v3
	v_div_fixup_f32 v1, v2, 0x461c4000, v1
	v_mov_b32_e32 v2, v3
.LBB35_260:
	s_or_b32 exec_lo, exec_lo, s2
	v_or_b32_e32 v17, 0x100, v0
	v_cmp_gt_u32_e64 s0, s21, v17
	s_and_saveexec_b32 s3, s0
	s_cbranch_execz .LBB35_264
; %bb.261:
	v_add_nc_u32_e32 v3, s20, v17
	s_movk_i32 s8, 0x2710
	v_lshlrev_b32_e32 v17, 12, v3
	v_add3_u32 v3, v3, v17, 0x7ed55d16
	v_lshrrev_b32_e32 v17, 19, v3
	v_xor3_b32 v3, v3, v17, 0xc761c23c
	v_lshl_add_u32 v3, v3, 5, v3
	v_add_nc_u32_e32 v17, 0xe9f8cc1d, v3
	v_lshl_add_u32 v3, v3, 9, 0xaccf6200
	v_xor_b32_e32 v3, v17, v3
	v_lshlrev_b32_e32 v17, 3, v3
	v_add3_u32 v3, v3, v17, 0xfd7046c5
	v_lshrrev_b32_e32 v17, 16, v3
	v_xor3_b32 v3, v3, v17, 0xb55a4f09
	v_mul_hi_u32 v17, v3, 3
	v_sub_nc_u32_e32 v18, v3, v17
	v_lshrrev_b32_e32 v18, 1, v18
	v_add_nc_u32_e32 v17, v18, v17
	v_lshrrev_b32_e32 v17, 30, v17
	v_mul_lo_u32 v17, 0x7fffffff, v17
	v_sub_nc_u32_e32 v3, v3, v17
	v_max_u32_e32 v17, 1, v3
	v_mov_b32_e32 v3, 0
.LBB35_262:                             ; =>This Inner Loop Header: Depth=1
	v_mul_hi_u32 v18, 0xbc8f1391, v17
	s_add_i32 s8, s8, -2
	s_cmp_lg_u32 s8, 0
	v_lshrrev_b32_e32 v18, 15, v18
	v_mul_u32_u24_e32 v19, 0xadc8, v18
	v_mul_u32_u24_e32 v18, 0xd47, v18
	v_sub_nc_u32_e32 v17, v17, v19
	v_xor_b32_e32 v19, 0x7fffffff, v18
	v_sub_nc_u32_e32 v20, 0, v18
	v_mul_lo_u32 v17, 0xbc8f, v17
	v_cmp_lt_u32_e32 vcc_lo, v17, v18
	v_cndmask_b32_e32 v18, v20, v19, vcc_lo
	v_add_nc_u32_e32 v17, v18, v17
	v_mul_hi_u32 v18, 0xbc8f1391, v17
	v_lshrrev_b32_e32 v18, 15, v18
	v_mul_u32_u24_e32 v19, 0xadc8, v18
	v_mul_u32_u24_e32 v18, 0xd47, v18
	v_sub_nc_u32_e32 v19, v17, v19
	v_xor_b32_e32 v20, 0x7fffffff, v18
	v_sub_nc_u32_e32 v21, 0, v18
	v_add_nc_u32_e32 v17, -1, v17
	v_mul_lo_u32 v19, 0xbc8f, v19
	v_cvt_f32_u32_e32 v17, v17
	v_cmp_lt_u32_e32 vcc_lo, v19, v18
	v_cndmask_b32_e32 v18, v21, v20, vcc_lo
	v_add_nc_u32_e32 v18, v18, v19
	v_mul_hi_u32 v19, 0xbc8f1391, v18
	v_lshrrev_b32_e32 v19, 15, v19
	v_mul_u32_u24_e32 v20, 0xadc8, v19
	v_mul_u32_u24_e32 v19, 0xd47, v19
	v_sub_nc_u32_e32 v20, v18, v20
	v_xor_b32_e32 v21, 0x7fffffff, v19
	v_sub_nc_u32_e32 v22, 0, v19
	v_add_nc_u32_e32 v18, -1, v18
	v_mul_lo_u32 v20, 0xbc8f, v20
	v_cvt_f32_u32_e32 v18, v18
	v_fma_f32 v18, 0x30000000, v18, 0
	v_cmp_lt_u32_e32 vcc_lo, v20, v19
	v_mul_f32_e32 v18, v18, v18
	v_cndmask_b32_e32 v19, v22, v21, vcc_lo
	v_fma_f32 v21, 0x30000000, v17, 0
	v_add_nc_u32_e32 v19, v19, v20
	v_fmac_f32_e32 v18, v21, v21
	v_mul_hi_u32 v20, 0xbc8f1391, v19
	v_mul_f32_e32 v21, 0x4f800000, v18
	v_lshrrev_b32_e32 v17, 15, v20
	v_mul_u32_u24_e32 v20, 0xadc8, v17
	v_mul_u32_u24_e32 v17, 0xd47, v17
	v_sub_nc_u32_e32 v20, v19, v20
	v_xor_b32_e32 v22, 0x7fffffff, v17
	v_sub_nc_u32_e32 v23, 0, v17
	v_add_nc_u32_e32 v19, -1, v19
	v_mul_lo_u32 v20, 0xbc8f, v20
	v_cvt_f32_u32_e32 v19, v19
	v_fma_f32 v19, 0x30000000, v19, 0
	v_cmp_lt_u32_e32 vcc_lo, v20, v17
	v_cndmask_b32_e32 v17, v23, v22, vcc_lo
	v_cmp_gt_f32_e32 vcc_lo, 0xf800000, v18
	v_add_f32_e32 v22, 1.0, v3
	v_add_nc_u32_e32 v17, v17, v20
	v_cndmask_b32_e32 v18, v18, v21, vcc_lo
	v_add_nc_u32_e32 v20, -1, v17
	v_cvt_f32_u32_e32 v20, v20
	v_fma_f32 v20, 0x30000000, v20, 0
	v_mul_f32_e32 v20, v20, v20
	v_fmac_f32_e32 v20, v19, v19
	v_sqrt_f32_e32 v19, v18
	v_mul_f32_e32 v21, 0x4f800000, v20
	v_cmp_gt_f32_e64 s1, 0xf800000, v20
	v_cndmask_b32_e64 v20, v20, v21, s1
	v_add_nc_u32_e32 v21, -1, v19
	v_add_nc_u32_e32 v23, 1, v19
	v_sqrt_f32_e32 v24, v20
	v_fma_f32 v25, -v21, v19, v18
	v_fma_f32 v26, -v23, v19, v18
	v_cmp_ge_f32_e64 s2, 0, v25
	v_cndmask_b32_e64 v19, v19, v21, s2
	v_cmp_lt_f32_e64 s2, 0, v26
	v_add_nc_u32_e32 v21, -1, v24
	v_cndmask_b32_e64 v19, v19, v23, s2
	v_add_nc_u32_e32 v23, 1, v24
	v_fma_f32 v25, -v21, v24, v20
	v_mul_f32_e32 v26, 0x37800000, v19
	v_fma_f32 v27, -v23, v24, v20
	v_cmp_ge_f32_e64 s2, 0, v25
	v_cndmask_b32_e32 v19, v19, v26, vcc_lo
	v_cmp_class_f32_e64 vcc_lo, v18, 0x260
	v_cndmask_b32_e64 v21, v24, v21, s2
	v_cmp_lt_f32_e64 s2, 0, v27
	v_cndmask_b32_e32 v18, v19, v18, vcc_lo
	v_cndmask_b32_e64 v21, v21, v23, s2
	v_cmp_nge_f32_e32 vcc_lo, 1.0, v18
	v_mul_f32_e32 v19, 0x37800000, v21
	v_cndmask_b32_e32 v3, v22, v3, vcc_lo
	v_cmp_class_f32_e64 vcc_lo, v20, 0x260
	v_cndmask_b32_e64 v18, v21, v19, s1
	v_add_f32_e32 v19, 1.0, v3
	v_cndmask_b32_e32 v18, v18, v20, vcc_lo
	v_cmp_nge_f32_e32 vcc_lo, 1.0, v18
	v_cndmask_b32_e32 v3, v19, v3, vcc_lo
	s_cbranch_scc1 .LBB35_262
; %bb.263:
	v_mul_f32_e32 v3, 4.0, v3
	v_div_scale_f32 v17, null, 0x461c4000, 0x461c4000, v3
	v_rcp_f32_e32 v18, v17
	v_fma_f32 v19, -v17, v18, 1.0
	v_fmac_f32_e32 v18, v19, v18
	v_div_scale_f32 v19, vcc_lo, v3, 0x461c4000, v3
	v_mul_f32_e32 v20, v19, v18
	v_fma_f32 v21, -v17, v20, v19
	v_fmac_f32_e32 v20, v21, v18
	v_fma_f32 v17, -v17, v20, v19
	v_div_fmas_f32 v17, v17, v18, v20
	v_div_fixup_f32 v3, v17, 0x461c4000, v3
.LBB35_264:
	s_or_b32 exec_lo, exec_lo, s3
	v_or_b32_e32 v17, 0x200, v0
	v_cmp_gt_u32_e64 s1, s21, v17
	s_and_saveexec_b32 s8, s1
	s_cbranch_execz .LBB35_268
; %bb.265:
	v_add_nc_u32_e32 v4, s20, v17
	s_movk_i32 s9, 0x2710
	v_lshlrev_b32_e32 v17, 12, v4
	v_add3_u32 v4, v4, v17, 0x7ed55d16
	v_lshrrev_b32_e32 v17, 19, v4
	v_xor3_b32 v4, v4, v17, 0xc761c23c
	v_lshl_add_u32 v4, v4, 5, v4
	v_add_nc_u32_e32 v17, 0xe9f8cc1d, v4
	v_lshl_add_u32 v4, v4, 9, 0xaccf6200
	v_xor_b32_e32 v4, v17, v4
	v_lshlrev_b32_e32 v17, 3, v4
	v_add3_u32 v4, v4, v17, 0xfd7046c5
	v_lshrrev_b32_e32 v17, 16, v4
	v_xor3_b32 v4, v4, v17, 0xb55a4f09
	v_mul_hi_u32 v17, v4, 3
	v_sub_nc_u32_e32 v18, v4, v17
	v_lshrrev_b32_e32 v18, 1, v18
	v_add_nc_u32_e32 v17, v18, v17
	v_lshrrev_b32_e32 v17, 30, v17
	v_mul_lo_u32 v17, 0x7fffffff, v17
	v_sub_nc_u32_e32 v4, v4, v17
	v_max_u32_e32 v17, 1, v4
	v_mov_b32_e32 v4, 0
.LBB35_266:                             ; =>This Inner Loop Header: Depth=1
	v_mul_hi_u32 v18, 0xbc8f1391, v17
	s_add_i32 s9, s9, -2
	s_cmp_lg_u32 s9, 0
	v_lshrrev_b32_e32 v18, 15, v18
	v_mul_u32_u24_e32 v19, 0xadc8, v18
	v_mul_u32_u24_e32 v18, 0xd47, v18
	v_sub_nc_u32_e32 v17, v17, v19
	v_xor_b32_e32 v19, 0x7fffffff, v18
	v_sub_nc_u32_e32 v20, 0, v18
	v_mul_lo_u32 v17, 0xbc8f, v17
	v_cmp_lt_u32_e32 vcc_lo, v17, v18
	v_cndmask_b32_e32 v18, v20, v19, vcc_lo
	v_add_nc_u32_e32 v17, v18, v17
	v_mul_hi_u32 v18, 0xbc8f1391, v17
	v_lshrrev_b32_e32 v18, 15, v18
	v_mul_u32_u24_e32 v19, 0xadc8, v18
	v_mul_u32_u24_e32 v18, 0xd47, v18
	v_sub_nc_u32_e32 v19, v17, v19
	v_xor_b32_e32 v20, 0x7fffffff, v18
	v_sub_nc_u32_e32 v21, 0, v18
	v_add_nc_u32_e32 v17, -1, v17
	v_mul_lo_u32 v19, 0xbc8f, v19
	v_cvt_f32_u32_e32 v17, v17
	v_cmp_lt_u32_e32 vcc_lo, v19, v18
	v_cndmask_b32_e32 v18, v21, v20, vcc_lo
	v_add_nc_u32_e32 v18, v18, v19
	v_mul_hi_u32 v19, 0xbc8f1391, v18
	v_lshrrev_b32_e32 v19, 15, v19
	v_mul_u32_u24_e32 v20, 0xadc8, v19
	v_mul_u32_u24_e32 v19, 0xd47, v19
	v_sub_nc_u32_e32 v20, v18, v20
	v_xor_b32_e32 v21, 0x7fffffff, v19
	v_sub_nc_u32_e32 v22, 0, v19
	v_add_nc_u32_e32 v18, -1, v18
	v_mul_lo_u32 v20, 0xbc8f, v20
	v_cvt_f32_u32_e32 v18, v18
	v_fma_f32 v18, 0x30000000, v18, 0
	v_cmp_lt_u32_e32 vcc_lo, v20, v19
	v_mul_f32_e32 v18, v18, v18
	v_cndmask_b32_e32 v19, v22, v21, vcc_lo
	v_fma_f32 v21, 0x30000000, v17, 0
	v_add_nc_u32_e32 v19, v19, v20
	v_fmac_f32_e32 v18, v21, v21
	v_mul_hi_u32 v20, 0xbc8f1391, v19
	v_mul_f32_e32 v21, 0x4f800000, v18
	v_lshrrev_b32_e32 v17, 15, v20
	v_mul_u32_u24_e32 v20, 0xadc8, v17
	v_mul_u32_u24_e32 v17, 0xd47, v17
	v_sub_nc_u32_e32 v20, v19, v20
	v_xor_b32_e32 v22, 0x7fffffff, v17
	v_sub_nc_u32_e32 v23, 0, v17
	v_add_nc_u32_e32 v19, -1, v19
	v_mul_lo_u32 v20, 0xbc8f, v20
	v_cvt_f32_u32_e32 v19, v19
	v_fma_f32 v19, 0x30000000, v19, 0
	v_cmp_lt_u32_e32 vcc_lo, v20, v17
	v_cndmask_b32_e32 v17, v23, v22, vcc_lo
	v_cmp_gt_f32_e32 vcc_lo, 0xf800000, v18
	v_add_f32_e32 v22, 1.0, v4
	v_add_nc_u32_e32 v17, v17, v20
	v_cndmask_b32_e32 v18, v18, v21, vcc_lo
	v_add_nc_u32_e32 v20, -1, v17
	v_cvt_f32_u32_e32 v20, v20
	v_fma_f32 v20, 0x30000000, v20, 0
	v_mul_f32_e32 v20, v20, v20
	v_fmac_f32_e32 v20, v19, v19
	v_sqrt_f32_e32 v19, v18
	v_mul_f32_e32 v21, 0x4f800000, v20
	v_cmp_gt_f32_e64 s2, 0xf800000, v20
	v_cndmask_b32_e64 v20, v20, v21, s2
	v_add_nc_u32_e32 v21, -1, v19
	v_add_nc_u32_e32 v23, 1, v19
	v_sqrt_f32_e32 v24, v20
	v_fma_f32 v25, -v21, v19, v18
	v_fma_f32 v26, -v23, v19, v18
	v_cmp_ge_f32_e64 s3, 0, v25
	v_cndmask_b32_e64 v19, v19, v21, s3
	v_cmp_lt_f32_e64 s3, 0, v26
	v_add_nc_u32_e32 v21, -1, v24
	v_cndmask_b32_e64 v19, v19, v23, s3
	v_add_nc_u32_e32 v23, 1, v24
	v_fma_f32 v25, -v21, v24, v20
	v_mul_f32_e32 v26, 0x37800000, v19
	v_fma_f32 v27, -v23, v24, v20
	v_cmp_ge_f32_e64 s3, 0, v25
	v_cndmask_b32_e32 v19, v19, v26, vcc_lo
	v_cmp_class_f32_e64 vcc_lo, v18, 0x260
	v_cndmask_b32_e64 v21, v24, v21, s3
	v_cmp_lt_f32_e64 s3, 0, v27
	v_cndmask_b32_e32 v18, v19, v18, vcc_lo
	v_cndmask_b32_e64 v21, v21, v23, s3
	v_cmp_nge_f32_e32 vcc_lo, 1.0, v18
	v_mul_f32_e32 v19, 0x37800000, v21
	v_cndmask_b32_e32 v4, v22, v4, vcc_lo
	v_cmp_class_f32_e64 vcc_lo, v20, 0x260
	v_cndmask_b32_e64 v18, v21, v19, s2
	v_add_f32_e32 v19, 1.0, v4
	v_cndmask_b32_e32 v18, v18, v20, vcc_lo
	v_cmp_nge_f32_e32 vcc_lo, 1.0, v18
	v_cndmask_b32_e32 v4, v19, v4, vcc_lo
	s_cbranch_scc1 .LBB35_266
; %bb.267:
	v_mul_f32_e32 v4, 4.0, v4
	v_div_scale_f32 v17, null, 0x461c4000, 0x461c4000, v4
	v_rcp_f32_e32 v18, v17
	v_fma_f32 v19, -v17, v18, 1.0
	v_fmac_f32_e32 v18, v19, v18
	v_div_scale_f32 v19, vcc_lo, v4, 0x461c4000, v4
	v_mul_f32_e32 v20, v19, v18
	v_fma_f32 v21, -v17, v20, v19
	v_fmac_f32_e32 v20, v21, v18
	v_fma_f32 v17, -v17, v20, v19
	v_div_fmas_f32 v17, v17, v18, v20
	v_div_fixup_f32 v4, v17, 0x461c4000, v4
.LBB35_268:
	s_or_b32 exec_lo, exec_lo, s8
	v_or_b32_e32 v17, 0x300, v0
	v_cmp_gt_u32_e64 s2, s21, v17
	s_and_saveexec_b32 s9, s2
	s_cbranch_execz .LBB35_272
; %bb.269:
	v_add_nc_u32_e32 v5, s20, v17
	s_movk_i32 s10, 0x2710
	v_lshlrev_b32_e32 v17, 12, v5
	v_add3_u32 v5, v5, v17, 0x7ed55d16
	v_lshrrev_b32_e32 v17, 19, v5
	v_xor3_b32 v5, v5, v17, 0xc761c23c
	v_lshl_add_u32 v5, v5, 5, v5
	v_add_nc_u32_e32 v17, 0xe9f8cc1d, v5
	v_lshl_add_u32 v5, v5, 9, 0xaccf6200
	v_xor_b32_e32 v5, v17, v5
	v_lshlrev_b32_e32 v17, 3, v5
	v_add3_u32 v5, v5, v17, 0xfd7046c5
	v_lshrrev_b32_e32 v17, 16, v5
	v_xor3_b32 v5, v5, v17, 0xb55a4f09
	v_mul_hi_u32 v17, v5, 3
	v_sub_nc_u32_e32 v18, v5, v17
	v_lshrrev_b32_e32 v18, 1, v18
	v_add_nc_u32_e32 v17, v18, v17
	v_lshrrev_b32_e32 v17, 30, v17
	v_mul_lo_u32 v17, 0x7fffffff, v17
	v_sub_nc_u32_e32 v5, v5, v17
	v_max_u32_e32 v17, 1, v5
	v_mov_b32_e32 v5, 0
.LBB35_270:                             ; =>This Inner Loop Header: Depth=1
	v_mul_hi_u32 v18, 0xbc8f1391, v17
	s_add_i32 s10, s10, -2
	s_cmp_lg_u32 s10, 0
	v_lshrrev_b32_e32 v18, 15, v18
	v_mul_u32_u24_e32 v19, 0xadc8, v18
	v_mul_u32_u24_e32 v18, 0xd47, v18
	v_sub_nc_u32_e32 v17, v17, v19
	v_xor_b32_e32 v19, 0x7fffffff, v18
	v_sub_nc_u32_e32 v20, 0, v18
	v_mul_lo_u32 v17, 0xbc8f, v17
	v_cmp_lt_u32_e32 vcc_lo, v17, v18
	v_cndmask_b32_e32 v18, v20, v19, vcc_lo
	v_add_nc_u32_e32 v17, v18, v17
	v_mul_hi_u32 v18, 0xbc8f1391, v17
	v_lshrrev_b32_e32 v18, 15, v18
	v_mul_u32_u24_e32 v19, 0xadc8, v18
	v_mul_u32_u24_e32 v18, 0xd47, v18
	v_sub_nc_u32_e32 v19, v17, v19
	v_xor_b32_e32 v20, 0x7fffffff, v18
	v_sub_nc_u32_e32 v21, 0, v18
	v_add_nc_u32_e32 v17, -1, v17
	v_mul_lo_u32 v19, 0xbc8f, v19
	v_cvt_f32_u32_e32 v17, v17
	v_cmp_lt_u32_e32 vcc_lo, v19, v18
	v_cndmask_b32_e32 v18, v21, v20, vcc_lo
	v_add_nc_u32_e32 v18, v18, v19
	v_mul_hi_u32 v19, 0xbc8f1391, v18
	v_lshrrev_b32_e32 v19, 15, v19
	v_mul_u32_u24_e32 v20, 0xadc8, v19
	v_mul_u32_u24_e32 v19, 0xd47, v19
	v_sub_nc_u32_e32 v20, v18, v20
	v_xor_b32_e32 v21, 0x7fffffff, v19
	v_sub_nc_u32_e32 v22, 0, v19
	v_add_nc_u32_e32 v18, -1, v18
	v_mul_lo_u32 v20, 0xbc8f, v20
	v_cvt_f32_u32_e32 v18, v18
	v_fma_f32 v18, 0x30000000, v18, 0
	v_cmp_lt_u32_e32 vcc_lo, v20, v19
	v_mul_f32_e32 v18, v18, v18
	v_cndmask_b32_e32 v19, v22, v21, vcc_lo
	v_fma_f32 v21, 0x30000000, v17, 0
	v_add_nc_u32_e32 v19, v19, v20
	v_fmac_f32_e32 v18, v21, v21
	v_mul_hi_u32 v20, 0xbc8f1391, v19
	v_mul_f32_e32 v21, 0x4f800000, v18
	v_lshrrev_b32_e32 v17, 15, v20
	v_mul_u32_u24_e32 v20, 0xadc8, v17
	v_mul_u32_u24_e32 v17, 0xd47, v17
	v_sub_nc_u32_e32 v20, v19, v20
	v_xor_b32_e32 v22, 0x7fffffff, v17
	v_sub_nc_u32_e32 v23, 0, v17
	v_add_nc_u32_e32 v19, -1, v19
	v_mul_lo_u32 v20, 0xbc8f, v20
	v_cvt_f32_u32_e32 v19, v19
	v_fma_f32 v19, 0x30000000, v19, 0
	v_cmp_lt_u32_e32 vcc_lo, v20, v17
	v_cndmask_b32_e32 v17, v23, v22, vcc_lo
	v_cmp_gt_f32_e32 vcc_lo, 0xf800000, v18
	v_add_f32_e32 v22, 1.0, v5
	v_add_nc_u32_e32 v17, v17, v20
	v_cndmask_b32_e32 v18, v18, v21, vcc_lo
	v_add_nc_u32_e32 v20, -1, v17
	v_cvt_f32_u32_e32 v20, v20
	v_fma_f32 v20, 0x30000000, v20, 0
	v_mul_f32_e32 v20, v20, v20
	v_fmac_f32_e32 v20, v19, v19
	v_sqrt_f32_e32 v19, v18
	v_mul_f32_e32 v21, 0x4f800000, v20
	v_cmp_gt_f32_e64 s3, 0xf800000, v20
	v_cndmask_b32_e64 v20, v20, v21, s3
	v_add_nc_u32_e32 v21, -1, v19
	v_add_nc_u32_e32 v23, 1, v19
	v_sqrt_f32_e32 v24, v20
	v_fma_f32 v25, -v21, v19, v18
	v_fma_f32 v26, -v23, v19, v18
	v_cmp_ge_f32_e64 s8, 0, v25
	v_cndmask_b32_e64 v19, v19, v21, s8
	v_cmp_lt_f32_e64 s8, 0, v26
	v_add_nc_u32_e32 v21, -1, v24
	v_cndmask_b32_e64 v19, v19, v23, s8
	v_add_nc_u32_e32 v23, 1, v24
	v_fma_f32 v25, -v21, v24, v20
	v_mul_f32_e32 v26, 0x37800000, v19
	v_fma_f32 v27, -v23, v24, v20
	v_cmp_ge_f32_e64 s8, 0, v25
	v_cndmask_b32_e32 v19, v19, v26, vcc_lo
	v_cmp_class_f32_e64 vcc_lo, v18, 0x260
	v_cndmask_b32_e64 v21, v24, v21, s8
	v_cmp_lt_f32_e64 s8, 0, v27
	v_cndmask_b32_e32 v18, v19, v18, vcc_lo
	v_cndmask_b32_e64 v21, v21, v23, s8
	v_cmp_nge_f32_e32 vcc_lo, 1.0, v18
	v_mul_f32_e32 v19, 0x37800000, v21
	v_cndmask_b32_e32 v5, v22, v5, vcc_lo
	v_cmp_class_f32_e64 vcc_lo, v20, 0x260
	v_cndmask_b32_e64 v18, v21, v19, s3
	v_add_f32_e32 v19, 1.0, v5
	v_cndmask_b32_e32 v18, v18, v20, vcc_lo
	v_cmp_nge_f32_e32 vcc_lo, 1.0, v18
	v_cndmask_b32_e32 v5, v19, v5, vcc_lo
	s_cbranch_scc1 .LBB35_270
; %bb.271:
	v_mul_f32_e32 v5, 4.0, v5
	v_div_scale_f32 v17, null, 0x461c4000, 0x461c4000, v5
	v_rcp_f32_e32 v18, v17
	v_fma_f32 v19, -v17, v18, 1.0
	v_fmac_f32_e32 v18, v19, v18
	v_div_scale_f32 v19, vcc_lo, v5, 0x461c4000, v5
	v_mul_f32_e32 v20, v19, v18
	v_fma_f32 v21, -v17, v20, v19
	v_fmac_f32_e32 v20, v21, v18
	v_fma_f32 v17, -v17, v20, v19
	v_div_fmas_f32 v17, v17, v18, v20
	v_div_fixup_f32 v5, v17, 0x461c4000, v5
.LBB35_272:
	s_or_b32 exec_lo, exec_lo, s9
	v_or_b32_e32 v17, 0x400, v0
	v_cmp_gt_u32_e64 s3, s21, v17
	s_and_saveexec_b32 s10, s3
	s_cbranch_execz .LBB35_276
; %bb.273:
	v_add_nc_u32_e32 v6, s20, v17
	s_movk_i32 s11, 0x2710
	v_lshlrev_b32_e32 v17, 12, v6
	v_add3_u32 v6, v6, v17, 0x7ed55d16
	v_lshrrev_b32_e32 v17, 19, v6
	v_xor3_b32 v6, v6, v17, 0xc761c23c
	v_lshl_add_u32 v6, v6, 5, v6
	v_add_nc_u32_e32 v17, 0xe9f8cc1d, v6
	v_lshl_add_u32 v6, v6, 9, 0xaccf6200
	v_xor_b32_e32 v6, v17, v6
	v_lshlrev_b32_e32 v17, 3, v6
	v_add3_u32 v6, v6, v17, 0xfd7046c5
	v_lshrrev_b32_e32 v17, 16, v6
	v_xor3_b32 v6, v6, v17, 0xb55a4f09
	v_mul_hi_u32 v17, v6, 3
	v_sub_nc_u32_e32 v18, v6, v17
	v_lshrrev_b32_e32 v18, 1, v18
	v_add_nc_u32_e32 v17, v18, v17
	v_lshrrev_b32_e32 v17, 30, v17
	v_mul_lo_u32 v17, 0x7fffffff, v17
	v_sub_nc_u32_e32 v6, v6, v17
	v_max_u32_e32 v17, 1, v6
	v_mov_b32_e32 v6, 0
.LBB35_274:                             ; =>This Inner Loop Header: Depth=1
	v_mul_hi_u32 v18, 0xbc8f1391, v17
	s_add_i32 s11, s11, -2
	s_cmp_lg_u32 s11, 0
	v_lshrrev_b32_e32 v18, 15, v18
	v_mul_u32_u24_e32 v19, 0xadc8, v18
	v_mul_u32_u24_e32 v18, 0xd47, v18
	v_sub_nc_u32_e32 v17, v17, v19
	v_xor_b32_e32 v19, 0x7fffffff, v18
	v_sub_nc_u32_e32 v20, 0, v18
	v_mul_lo_u32 v17, 0xbc8f, v17
	v_cmp_lt_u32_e32 vcc_lo, v17, v18
	v_cndmask_b32_e32 v18, v20, v19, vcc_lo
	v_add_nc_u32_e32 v17, v18, v17
	v_mul_hi_u32 v18, 0xbc8f1391, v17
	v_lshrrev_b32_e32 v18, 15, v18
	v_mul_u32_u24_e32 v19, 0xadc8, v18
	v_mul_u32_u24_e32 v18, 0xd47, v18
	v_sub_nc_u32_e32 v19, v17, v19
	v_xor_b32_e32 v20, 0x7fffffff, v18
	v_sub_nc_u32_e32 v21, 0, v18
	v_add_nc_u32_e32 v17, -1, v17
	v_mul_lo_u32 v19, 0xbc8f, v19
	v_cvt_f32_u32_e32 v17, v17
	v_cmp_lt_u32_e32 vcc_lo, v19, v18
	v_cndmask_b32_e32 v18, v21, v20, vcc_lo
	v_add_nc_u32_e32 v18, v18, v19
	v_mul_hi_u32 v19, 0xbc8f1391, v18
	v_lshrrev_b32_e32 v19, 15, v19
	v_mul_u32_u24_e32 v20, 0xadc8, v19
	v_mul_u32_u24_e32 v19, 0xd47, v19
	v_sub_nc_u32_e32 v20, v18, v20
	v_xor_b32_e32 v21, 0x7fffffff, v19
	v_sub_nc_u32_e32 v22, 0, v19
	v_add_nc_u32_e32 v18, -1, v18
	v_mul_lo_u32 v20, 0xbc8f, v20
	v_cvt_f32_u32_e32 v18, v18
	v_fma_f32 v18, 0x30000000, v18, 0
	v_cmp_lt_u32_e32 vcc_lo, v20, v19
	v_mul_f32_e32 v18, v18, v18
	v_cndmask_b32_e32 v19, v22, v21, vcc_lo
	v_fma_f32 v21, 0x30000000, v17, 0
	v_add_nc_u32_e32 v19, v19, v20
	v_fmac_f32_e32 v18, v21, v21
	v_mul_hi_u32 v20, 0xbc8f1391, v19
	v_mul_f32_e32 v21, 0x4f800000, v18
	v_lshrrev_b32_e32 v17, 15, v20
	v_mul_u32_u24_e32 v20, 0xadc8, v17
	v_mul_u32_u24_e32 v17, 0xd47, v17
	v_sub_nc_u32_e32 v20, v19, v20
	v_xor_b32_e32 v22, 0x7fffffff, v17
	v_sub_nc_u32_e32 v23, 0, v17
	v_add_nc_u32_e32 v19, -1, v19
	v_mul_lo_u32 v20, 0xbc8f, v20
	v_cvt_f32_u32_e32 v19, v19
	v_fma_f32 v19, 0x30000000, v19, 0
	v_cmp_lt_u32_e32 vcc_lo, v20, v17
	v_cndmask_b32_e32 v17, v23, v22, vcc_lo
	v_cmp_gt_f32_e32 vcc_lo, 0xf800000, v18
	v_add_f32_e32 v22, 1.0, v6
	v_add_nc_u32_e32 v17, v17, v20
	v_cndmask_b32_e32 v18, v18, v21, vcc_lo
	v_add_nc_u32_e32 v20, -1, v17
	v_cvt_f32_u32_e32 v20, v20
	v_fma_f32 v20, 0x30000000, v20, 0
	v_mul_f32_e32 v20, v20, v20
	v_fmac_f32_e32 v20, v19, v19
	v_sqrt_f32_e32 v19, v18
	v_mul_f32_e32 v21, 0x4f800000, v20
	v_cmp_gt_f32_e64 s8, 0xf800000, v20
	v_cndmask_b32_e64 v20, v20, v21, s8
	v_add_nc_u32_e32 v21, -1, v19
	v_add_nc_u32_e32 v23, 1, v19
	v_sqrt_f32_e32 v24, v20
	v_fma_f32 v25, -v21, v19, v18
	v_fma_f32 v26, -v23, v19, v18
	v_cmp_ge_f32_e64 s9, 0, v25
	v_cndmask_b32_e64 v19, v19, v21, s9
	v_cmp_lt_f32_e64 s9, 0, v26
	v_add_nc_u32_e32 v21, -1, v24
	v_cndmask_b32_e64 v19, v19, v23, s9
	v_add_nc_u32_e32 v23, 1, v24
	v_fma_f32 v25, -v21, v24, v20
	v_mul_f32_e32 v26, 0x37800000, v19
	v_fma_f32 v27, -v23, v24, v20
	v_cmp_ge_f32_e64 s9, 0, v25
	v_cndmask_b32_e32 v19, v19, v26, vcc_lo
	v_cmp_class_f32_e64 vcc_lo, v18, 0x260
	v_cndmask_b32_e64 v21, v24, v21, s9
	v_cmp_lt_f32_e64 s9, 0, v27
	v_cndmask_b32_e32 v18, v19, v18, vcc_lo
	v_cndmask_b32_e64 v21, v21, v23, s9
	v_cmp_nge_f32_e32 vcc_lo, 1.0, v18
	v_mul_f32_e32 v19, 0x37800000, v21
	v_cndmask_b32_e32 v6, v22, v6, vcc_lo
	v_cmp_class_f32_e64 vcc_lo, v20, 0x260
	v_cndmask_b32_e64 v18, v21, v19, s8
	v_add_f32_e32 v19, 1.0, v6
	v_cndmask_b32_e32 v18, v18, v20, vcc_lo
	v_cmp_nge_f32_e32 vcc_lo, 1.0, v18
	v_cndmask_b32_e32 v6, v19, v6, vcc_lo
	s_cbranch_scc1 .LBB35_274
; %bb.275:
	v_mul_f32_e32 v6, 4.0, v6
	v_div_scale_f32 v17, null, 0x461c4000, 0x461c4000, v6
	v_rcp_f32_e32 v18, v17
	v_fma_f32 v19, -v17, v18, 1.0
	v_fmac_f32_e32 v18, v19, v18
	v_div_scale_f32 v19, vcc_lo, v6, 0x461c4000, v6
	v_mul_f32_e32 v20, v19, v18
	v_fma_f32 v21, -v17, v20, v19
	v_fmac_f32_e32 v20, v21, v18
	v_fma_f32 v17, -v17, v20, v19
	v_div_fmas_f32 v17, v17, v18, v20
	v_div_fixup_f32 v6, v17, 0x461c4000, v6
.LBB35_276:
	s_or_b32 exec_lo, exec_lo, s10
	v_or_b32_e32 v17, 0x500, v0
	v_cmp_gt_u32_e64 s8, s21, v17
	s_and_saveexec_b32 s11, s8
	s_cbranch_execz .LBB35_280
; %bb.277:
	v_add_nc_u32_e32 v7, s20, v17
	s_movk_i32 s12, 0x2710
	v_lshlrev_b32_e32 v17, 12, v7
	v_add3_u32 v7, v7, v17, 0x7ed55d16
	v_lshrrev_b32_e32 v17, 19, v7
	v_xor3_b32 v7, v7, v17, 0xc761c23c
	v_lshl_add_u32 v7, v7, 5, v7
	v_add_nc_u32_e32 v17, 0xe9f8cc1d, v7
	v_lshl_add_u32 v7, v7, 9, 0xaccf6200
	v_xor_b32_e32 v7, v17, v7
	v_lshlrev_b32_e32 v17, 3, v7
	v_add3_u32 v7, v7, v17, 0xfd7046c5
	v_lshrrev_b32_e32 v17, 16, v7
	v_xor3_b32 v7, v7, v17, 0xb55a4f09
	v_mul_hi_u32 v17, v7, 3
	v_sub_nc_u32_e32 v18, v7, v17
	v_lshrrev_b32_e32 v18, 1, v18
	v_add_nc_u32_e32 v17, v18, v17
	v_lshrrev_b32_e32 v17, 30, v17
	v_mul_lo_u32 v17, 0x7fffffff, v17
	v_sub_nc_u32_e32 v7, v7, v17
	v_max_u32_e32 v17, 1, v7
	v_mov_b32_e32 v7, 0
.LBB35_278:                             ; =>This Inner Loop Header: Depth=1
	v_mul_hi_u32 v18, 0xbc8f1391, v17
	s_add_i32 s12, s12, -2
	s_cmp_lg_u32 s12, 0
	v_lshrrev_b32_e32 v18, 15, v18
	v_mul_u32_u24_e32 v19, 0xadc8, v18
	v_mul_u32_u24_e32 v18, 0xd47, v18
	v_sub_nc_u32_e32 v17, v17, v19
	v_xor_b32_e32 v19, 0x7fffffff, v18
	v_sub_nc_u32_e32 v20, 0, v18
	v_mul_lo_u32 v17, 0xbc8f, v17
	v_cmp_lt_u32_e32 vcc_lo, v17, v18
	v_cndmask_b32_e32 v18, v20, v19, vcc_lo
	v_add_nc_u32_e32 v17, v18, v17
	v_mul_hi_u32 v18, 0xbc8f1391, v17
	v_lshrrev_b32_e32 v18, 15, v18
	v_mul_u32_u24_e32 v19, 0xadc8, v18
	v_mul_u32_u24_e32 v18, 0xd47, v18
	v_sub_nc_u32_e32 v19, v17, v19
	v_xor_b32_e32 v20, 0x7fffffff, v18
	v_sub_nc_u32_e32 v21, 0, v18
	v_add_nc_u32_e32 v17, -1, v17
	v_mul_lo_u32 v19, 0xbc8f, v19
	v_cvt_f32_u32_e32 v17, v17
	v_cmp_lt_u32_e32 vcc_lo, v19, v18
	v_cndmask_b32_e32 v18, v21, v20, vcc_lo
	v_add_nc_u32_e32 v18, v18, v19
	v_mul_hi_u32 v19, 0xbc8f1391, v18
	v_lshrrev_b32_e32 v19, 15, v19
	v_mul_u32_u24_e32 v20, 0xadc8, v19
	v_mul_u32_u24_e32 v19, 0xd47, v19
	v_sub_nc_u32_e32 v20, v18, v20
	v_xor_b32_e32 v21, 0x7fffffff, v19
	v_sub_nc_u32_e32 v22, 0, v19
	v_add_nc_u32_e32 v18, -1, v18
	v_mul_lo_u32 v20, 0xbc8f, v20
	v_cvt_f32_u32_e32 v18, v18
	v_fma_f32 v18, 0x30000000, v18, 0
	v_cmp_lt_u32_e32 vcc_lo, v20, v19
	v_mul_f32_e32 v18, v18, v18
	v_cndmask_b32_e32 v19, v22, v21, vcc_lo
	v_fma_f32 v21, 0x30000000, v17, 0
	v_add_nc_u32_e32 v19, v19, v20
	v_fmac_f32_e32 v18, v21, v21
	v_mul_hi_u32 v20, 0xbc8f1391, v19
	v_mul_f32_e32 v21, 0x4f800000, v18
	v_lshrrev_b32_e32 v17, 15, v20
	v_mul_u32_u24_e32 v20, 0xadc8, v17
	v_mul_u32_u24_e32 v17, 0xd47, v17
	v_sub_nc_u32_e32 v20, v19, v20
	v_xor_b32_e32 v22, 0x7fffffff, v17
	v_sub_nc_u32_e32 v23, 0, v17
	v_add_nc_u32_e32 v19, -1, v19
	v_mul_lo_u32 v20, 0xbc8f, v20
	v_cvt_f32_u32_e32 v19, v19
	v_fma_f32 v19, 0x30000000, v19, 0
	v_cmp_lt_u32_e32 vcc_lo, v20, v17
	v_cndmask_b32_e32 v17, v23, v22, vcc_lo
	v_cmp_gt_f32_e32 vcc_lo, 0xf800000, v18
	v_add_f32_e32 v22, 1.0, v7
	v_add_nc_u32_e32 v17, v17, v20
	v_cndmask_b32_e32 v18, v18, v21, vcc_lo
	v_add_nc_u32_e32 v20, -1, v17
	v_cvt_f32_u32_e32 v20, v20
	v_fma_f32 v20, 0x30000000, v20, 0
	v_mul_f32_e32 v20, v20, v20
	v_fmac_f32_e32 v20, v19, v19
	v_sqrt_f32_e32 v19, v18
	v_mul_f32_e32 v21, 0x4f800000, v20
	v_cmp_gt_f32_e64 s9, 0xf800000, v20
	v_cndmask_b32_e64 v20, v20, v21, s9
	v_add_nc_u32_e32 v21, -1, v19
	v_add_nc_u32_e32 v23, 1, v19
	v_sqrt_f32_e32 v24, v20
	v_fma_f32 v25, -v21, v19, v18
	v_fma_f32 v26, -v23, v19, v18
	v_cmp_ge_f32_e64 s10, 0, v25
	v_cndmask_b32_e64 v19, v19, v21, s10
	v_cmp_lt_f32_e64 s10, 0, v26
	v_add_nc_u32_e32 v21, -1, v24
	v_cndmask_b32_e64 v19, v19, v23, s10
	v_add_nc_u32_e32 v23, 1, v24
	v_fma_f32 v25, -v21, v24, v20
	v_mul_f32_e32 v26, 0x37800000, v19
	v_fma_f32 v27, -v23, v24, v20
	v_cmp_ge_f32_e64 s10, 0, v25
	v_cndmask_b32_e32 v19, v19, v26, vcc_lo
	v_cmp_class_f32_e64 vcc_lo, v18, 0x260
	v_cndmask_b32_e64 v21, v24, v21, s10
	v_cmp_lt_f32_e64 s10, 0, v27
	v_cndmask_b32_e32 v18, v19, v18, vcc_lo
	v_cndmask_b32_e64 v21, v21, v23, s10
	v_cmp_nge_f32_e32 vcc_lo, 1.0, v18
	v_mul_f32_e32 v19, 0x37800000, v21
	v_cndmask_b32_e32 v7, v22, v7, vcc_lo
	v_cmp_class_f32_e64 vcc_lo, v20, 0x260
	v_cndmask_b32_e64 v18, v21, v19, s9
	v_add_f32_e32 v19, 1.0, v7
	v_cndmask_b32_e32 v18, v18, v20, vcc_lo
	v_cmp_nge_f32_e32 vcc_lo, 1.0, v18
	v_cndmask_b32_e32 v7, v19, v7, vcc_lo
	s_cbranch_scc1 .LBB35_278
; %bb.279:
	v_mul_f32_e32 v7, 4.0, v7
	v_div_scale_f32 v17, null, 0x461c4000, 0x461c4000, v7
	v_rcp_f32_e32 v18, v17
	v_fma_f32 v19, -v17, v18, 1.0
	v_fmac_f32_e32 v18, v19, v18
	v_div_scale_f32 v19, vcc_lo, v7, 0x461c4000, v7
	v_mul_f32_e32 v20, v19, v18
	v_fma_f32 v21, -v17, v20, v19
	v_fmac_f32_e32 v20, v21, v18
	v_fma_f32 v17, -v17, v20, v19
	v_div_fmas_f32 v17, v17, v18, v20
	v_div_fixup_f32 v7, v17, 0x461c4000, v7
.LBB35_280:
	s_or_b32 exec_lo, exec_lo, s11
	v_or_b32_e32 v17, 0x600, v0
	v_cmp_gt_u32_e64 s9, s21, v17
	s_and_saveexec_b32 s12, s9
	s_cbranch_execz .LBB35_284
; %bb.281:
	v_add_nc_u32_e32 v8, s20, v17
	s_movk_i32 s13, 0x2710
	v_lshlrev_b32_e32 v17, 12, v8
	v_add3_u32 v8, v8, v17, 0x7ed55d16
	v_lshrrev_b32_e32 v17, 19, v8
	v_xor3_b32 v8, v8, v17, 0xc761c23c
	v_lshl_add_u32 v8, v8, 5, v8
	v_add_nc_u32_e32 v17, 0xe9f8cc1d, v8
	v_lshl_add_u32 v8, v8, 9, 0xaccf6200
	v_xor_b32_e32 v8, v17, v8
	v_lshlrev_b32_e32 v17, 3, v8
	v_add3_u32 v8, v8, v17, 0xfd7046c5
	v_lshrrev_b32_e32 v17, 16, v8
	v_xor3_b32 v8, v8, v17, 0xb55a4f09
	v_mul_hi_u32 v17, v8, 3
	v_sub_nc_u32_e32 v18, v8, v17
	v_lshrrev_b32_e32 v18, 1, v18
	v_add_nc_u32_e32 v17, v18, v17
	v_lshrrev_b32_e32 v17, 30, v17
	v_mul_lo_u32 v17, 0x7fffffff, v17
	v_sub_nc_u32_e32 v8, v8, v17
	v_max_u32_e32 v17, 1, v8
	v_mov_b32_e32 v8, 0
.LBB35_282:                             ; =>This Inner Loop Header: Depth=1
	v_mul_hi_u32 v18, 0xbc8f1391, v17
	s_add_i32 s13, s13, -2
	s_cmp_lg_u32 s13, 0
	v_lshrrev_b32_e32 v18, 15, v18
	v_mul_u32_u24_e32 v19, 0xadc8, v18
	v_mul_u32_u24_e32 v18, 0xd47, v18
	v_sub_nc_u32_e32 v17, v17, v19
	v_xor_b32_e32 v19, 0x7fffffff, v18
	v_sub_nc_u32_e32 v20, 0, v18
	v_mul_lo_u32 v17, 0xbc8f, v17
	v_cmp_lt_u32_e32 vcc_lo, v17, v18
	v_cndmask_b32_e32 v18, v20, v19, vcc_lo
	v_add_nc_u32_e32 v17, v18, v17
	v_mul_hi_u32 v18, 0xbc8f1391, v17
	v_lshrrev_b32_e32 v18, 15, v18
	v_mul_u32_u24_e32 v19, 0xadc8, v18
	v_mul_u32_u24_e32 v18, 0xd47, v18
	v_sub_nc_u32_e32 v19, v17, v19
	v_xor_b32_e32 v20, 0x7fffffff, v18
	v_sub_nc_u32_e32 v21, 0, v18
	v_add_nc_u32_e32 v17, -1, v17
	v_mul_lo_u32 v19, 0xbc8f, v19
	v_cvt_f32_u32_e32 v17, v17
	v_cmp_lt_u32_e32 vcc_lo, v19, v18
	v_cndmask_b32_e32 v18, v21, v20, vcc_lo
	v_add_nc_u32_e32 v18, v18, v19
	v_mul_hi_u32 v19, 0xbc8f1391, v18
	v_lshrrev_b32_e32 v19, 15, v19
	v_mul_u32_u24_e32 v20, 0xadc8, v19
	v_mul_u32_u24_e32 v19, 0xd47, v19
	v_sub_nc_u32_e32 v20, v18, v20
	v_xor_b32_e32 v21, 0x7fffffff, v19
	v_sub_nc_u32_e32 v22, 0, v19
	v_add_nc_u32_e32 v18, -1, v18
	v_mul_lo_u32 v20, 0xbc8f, v20
	v_cvt_f32_u32_e32 v18, v18
	v_fma_f32 v18, 0x30000000, v18, 0
	v_cmp_lt_u32_e32 vcc_lo, v20, v19
	v_mul_f32_e32 v18, v18, v18
	v_cndmask_b32_e32 v19, v22, v21, vcc_lo
	v_fma_f32 v21, 0x30000000, v17, 0
	v_add_nc_u32_e32 v19, v19, v20
	v_fmac_f32_e32 v18, v21, v21
	v_mul_hi_u32 v20, 0xbc8f1391, v19
	v_mul_f32_e32 v21, 0x4f800000, v18
	v_lshrrev_b32_e32 v17, 15, v20
	v_mul_u32_u24_e32 v20, 0xadc8, v17
	v_mul_u32_u24_e32 v17, 0xd47, v17
	v_sub_nc_u32_e32 v20, v19, v20
	v_xor_b32_e32 v22, 0x7fffffff, v17
	v_sub_nc_u32_e32 v23, 0, v17
	v_add_nc_u32_e32 v19, -1, v19
	v_mul_lo_u32 v20, 0xbc8f, v20
	v_cvt_f32_u32_e32 v19, v19
	v_fma_f32 v19, 0x30000000, v19, 0
	v_cmp_lt_u32_e32 vcc_lo, v20, v17
	v_cndmask_b32_e32 v17, v23, v22, vcc_lo
	v_cmp_gt_f32_e32 vcc_lo, 0xf800000, v18
	v_add_f32_e32 v22, 1.0, v8
	v_add_nc_u32_e32 v17, v17, v20
	v_cndmask_b32_e32 v18, v18, v21, vcc_lo
	v_add_nc_u32_e32 v20, -1, v17
	v_cvt_f32_u32_e32 v20, v20
	v_fma_f32 v20, 0x30000000, v20, 0
	v_mul_f32_e32 v20, v20, v20
	v_fmac_f32_e32 v20, v19, v19
	v_sqrt_f32_e32 v19, v18
	v_mul_f32_e32 v21, 0x4f800000, v20
	v_cmp_gt_f32_e64 s10, 0xf800000, v20
	v_cndmask_b32_e64 v20, v20, v21, s10
	v_add_nc_u32_e32 v21, -1, v19
	v_add_nc_u32_e32 v23, 1, v19
	v_sqrt_f32_e32 v24, v20
	v_fma_f32 v25, -v21, v19, v18
	v_fma_f32 v26, -v23, v19, v18
	v_cmp_ge_f32_e64 s11, 0, v25
	v_cndmask_b32_e64 v19, v19, v21, s11
	v_cmp_lt_f32_e64 s11, 0, v26
	v_add_nc_u32_e32 v21, -1, v24
	v_cndmask_b32_e64 v19, v19, v23, s11
	v_add_nc_u32_e32 v23, 1, v24
	v_fma_f32 v25, -v21, v24, v20
	v_mul_f32_e32 v26, 0x37800000, v19
	v_fma_f32 v27, -v23, v24, v20
	v_cmp_ge_f32_e64 s11, 0, v25
	v_cndmask_b32_e32 v19, v19, v26, vcc_lo
	v_cmp_class_f32_e64 vcc_lo, v18, 0x260
	v_cndmask_b32_e64 v21, v24, v21, s11
	v_cmp_lt_f32_e64 s11, 0, v27
	v_cndmask_b32_e32 v18, v19, v18, vcc_lo
	v_cndmask_b32_e64 v21, v21, v23, s11
	v_cmp_nge_f32_e32 vcc_lo, 1.0, v18
	v_mul_f32_e32 v19, 0x37800000, v21
	v_cndmask_b32_e32 v8, v22, v8, vcc_lo
	v_cmp_class_f32_e64 vcc_lo, v20, 0x260
	v_cndmask_b32_e64 v18, v21, v19, s10
	v_add_f32_e32 v19, 1.0, v8
	v_cndmask_b32_e32 v18, v18, v20, vcc_lo
	v_cmp_nge_f32_e32 vcc_lo, 1.0, v18
	v_cndmask_b32_e32 v8, v19, v8, vcc_lo
	s_cbranch_scc1 .LBB35_282
; %bb.283:
	v_mul_f32_e32 v8, 4.0, v8
	v_div_scale_f32 v17, null, 0x461c4000, 0x461c4000, v8
	v_rcp_f32_e32 v18, v17
	v_fma_f32 v19, -v17, v18, 1.0
	v_fmac_f32_e32 v18, v19, v18
	v_div_scale_f32 v19, vcc_lo, v8, 0x461c4000, v8
	v_mul_f32_e32 v20, v19, v18
	v_fma_f32 v21, -v17, v20, v19
	v_fmac_f32_e32 v20, v21, v18
	v_fma_f32 v17, -v17, v20, v19
	v_div_fmas_f32 v17, v17, v18, v20
	v_div_fixup_f32 v8, v17, 0x461c4000, v8
.LBB35_284:
	s_or_b32 exec_lo, exec_lo, s12
	v_or_b32_e32 v17, 0x700, v0
	v_cmp_gt_u32_e64 s10, s21, v17
	s_and_saveexec_b32 s13, s10
	s_cbranch_execz .LBB35_288
; %bb.285:
	v_add_nc_u32_e32 v9, s20, v17
	s_movk_i32 s14, 0x2710
	v_lshlrev_b32_e32 v17, 12, v9
	v_add3_u32 v9, v9, v17, 0x7ed55d16
	v_lshrrev_b32_e32 v17, 19, v9
	v_xor3_b32 v9, v9, v17, 0xc761c23c
	v_lshl_add_u32 v9, v9, 5, v9
	v_add_nc_u32_e32 v17, 0xe9f8cc1d, v9
	v_lshl_add_u32 v9, v9, 9, 0xaccf6200
	v_xor_b32_e32 v9, v17, v9
	v_lshlrev_b32_e32 v17, 3, v9
	v_add3_u32 v9, v9, v17, 0xfd7046c5
	v_lshrrev_b32_e32 v17, 16, v9
	v_xor3_b32 v9, v9, v17, 0xb55a4f09
	v_mul_hi_u32 v17, v9, 3
	v_sub_nc_u32_e32 v18, v9, v17
	v_lshrrev_b32_e32 v18, 1, v18
	v_add_nc_u32_e32 v17, v18, v17
	v_lshrrev_b32_e32 v17, 30, v17
	v_mul_lo_u32 v17, 0x7fffffff, v17
	v_sub_nc_u32_e32 v9, v9, v17
	v_max_u32_e32 v17, 1, v9
	v_mov_b32_e32 v9, 0
.LBB35_286:                             ; =>This Inner Loop Header: Depth=1
	v_mul_hi_u32 v18, 0xbc8f1391, v17
	s_add_i32 s14, s14, -2
	s_cmp_lg_u32 s14, 0
	v_lshrrev_b32_e32 v18, 15, v18
	v_mul_u32_u24_e32 v19, 0xadc8, v18
	v_mul_u32_u24_e32 v18, 0xd47, v18
	v_sub_nc_u32_e32 v17, v17, v19
	v_xor_b32_e32 v19, 0x7fffffff, v18
	v_sub_nc_u32_e32 v20, 0, v18
	v_mul_lo_u32 v17, 0xbc8f, v17
	v_cmp_lt_u32_e32 vcc_lo, v17, v18
	v_cndmask_b32_e32 v18, v20, v19, vcc_lo
	v_add_nc_u32_e32 v17, v18, v17
	v_mul_hi_u32 v18, 0xbc8f1391, v17
	v_lshrrev_b32_e32 v18, 15, v18
	v_mul_u32_u24_e32 v19, 0xadc8, v18
	v_mul_u32_u24_e32 v18, 0xd47, v18
	v_sub_nc_u32_e32 v19, v17, v19
	v_xor_b32_e32 v20, 0x7fffffff, v18
	v_sub_nc_u32_e32 v21, 0, v18
	v_add_nc_u32_e32 v17, -1, v17
	v_mul_lo_u32 v19, 0xbc8f, v19
	v_cvt_f32_u32_e32 v17, v17
	v_cmp_lt_u32_e32 vcc_lo, v19, v18
	v_cndmask_b32_e32 v18, v21, v20, vcc_lo
	v_add_nc_u32_e32 v18, v18, v19
	v_mul_hi_u32 v19, 0xbc8f1391, v18
	v_lshrrev_b32_e32 v19, 15, v19
	v_mul_u32_u24_e32 v20, 0xadc8, v19
	v_mul_u32_u24_e32 v19, 0xd47, v19
	v_sub_nc_u32_e32 v20, v18, v20
	v_xor_b32_e32 v21, 0x7fffffff, v19
	v_sub_nc_u32_e32 v22, 0, v19
	v_add_nc_u32_e32 v18, -1, v18
	v_mul_lo_u32 v20, 0xbc8f, v20
	v_cvt_f32_u32_e32 v18, v18
	v_fma_f32 v18, 0x30000000, v18, 0
	v_cmp_lt_u32_e32 vcc_lo, v20, v19
	v_mul_f32_e32 v18, v18, v18
	v_cndmask_b32_e32 v19, v22, v21, vcc_lo
	v_fma_f32 v21, 0x30000000, v17, 0
	v_add_nc_u32_e32 v19, v19, v20
	v_fmac_f32_e32 v18, v21, v21
	v_mul_hi_u32 v20, 0xbc8f1391, v19
	v_mul_f32_e32 v21, 0x4f800000, v18
	v_lshrrev_b32_e32 v17, 15, v20
	v_mul_u32_u24_e32 v20, 0xadc8, v17
	v_mul_u32_u24_e32 v17, 0xd47, v17
	v_sub_nc_u32_e32 v20, v19, v20
	v_xor_b32_e32 v22, 0x7fffffff, v17
	v_sub_nc_u32_e32 v23, 0, v17
	v_add_nc_u32_e32 v19, -1, v19
	v_mul_lo_u32 v20, 0xbc8f, v20
	v_cvt_f32_u32_e32 v19, v19
	v_fma_f32 v19, 0x30000000, v19, 0
	v_cmp_lt_u32_e32 vcc_lo, v20, v17
	v_cndmask_b32_e32 v17, v23, v22, vcc_lo
	v_cmp_gt_f32_e32 vcc_lo, 0xf800000, v18
	v_add_f32_e32 v22, 1.0, v9
	v_add_nc_u32_e32 v17, v17, v20
	v_cndmask_b32_e32 v18, v18, v21, vcc_lo
	v_add_nc_u32_e32 v20, -1, v17
	v_cvt_f32_u32_e32 v20, v20
	v_fma_f32 v20, 0x30000000, v20, 0
	v_mul_f32_e32 v20, v20, v20
	v_fmac_f32_e32 v20, v19, v19
	v_sqrt_f32_e32 v19, v18
	v_mul_f32_e32 v21, 0x4f800000, v20
	v_cmp_gt_f32_e64 s11, 0xf800000, v20
	v_cndmask_b32_e64 v20, v20, v21, s11
	v_add_nc_u32_e32 v21, -1, v19
	v_add_nc_u32_e32 v23, 1, v19
	v_sqrt_f32_e32 v24, v20
	v_fma_f32 v25, -v21, v19, v18
	v_fma_f32 v26, -v23, v19, v18
	v_cmp_ge_f32_e64 s12, 0, v25
	v_cndmask_b32_e64 v19, v19, v21, s12
	v_cmp_lt_f32_e64 s12, 0, v26
	v_add_nc_u32_e32 v21, -1, v24
	v_cndmask_b32_e64 v19, v19, v23, s12
	v_add_nc_u32_e32 v23, 1, v24
	v_fma_f32 v25, -v21, v24, v20
	v_mul_f32_e32 v26, 0x37800000, v19
	v_fma_f32 v27, -v23, v24, v20
	v_cmp_ge_f32_e64 s12, 0, v25
	v_cndmask_b32_e32 v19, v19, v26, vcc_lo
	v_cmp_class_f32_e64 vcc_lo, v18, 0x260
	v_cndmask_b32_e64 v21, v24, v21, s12
	v_cmp_lt_f32_e64 s12, 0, v27
	v_cndmask_b32_e32 v18, v19, v18, vcc_lo
	v_cndmask_b32_e64 v21, v21, v23, s12
	v_cmp_nge_f32_e32 vcc_lo, 1.0, v18
	v_mul_f32_e32 v19, 0x37800000, v21
	v_cndmask_b32_e32 v9, v22, v9, vcc_lo
	v_cmp_class_f32_e64 vcc_lo, v20, 0x260
	v_cndmask_b32_e64 v18, v21, v19, s11
	v_add_f32_e32 v19, 1.0, v9
	v_cndmask_b32_e32 v18, v18, v20, vcc_lo
	v_cmp_nge_f32_e32 vcc_lo, 1.0, v18
	v_cndmask_b32_e32 v9, v19, v9, vcc_lo
	s_cbranch_scc1 .LBB35_286
; %bb.287:
	v_mul_f32_e32 v9, 4.0, v9
	v_div_scale_f32 v17, null, 0x461c4000, 0x461c4000, v9
	v_rcp_f32_e32 v18, v17
	v_fma_f32 v19, -v17, v18, 1.0
	v_fmac_f32_e32 v18, v19, v18
	v_div_scale_f32 v19, vcc_lo, v9, 0x461c4000, v9
	v_mul_f32_e32 v20, v19, v18
	v_fma_f32 v21, -v17, v20, v19
	v_fmac_f32_e32 v20, v21, v18
	v_fma_f32 v17, -v17, v20, v19
	v_div_fmas_f32 v17, v17, v18, v20
	v_div_fixup_f32 v9, v17, 0x461c4000, v9
.LBB35_288:
	s_or_b32 exec_lo, exec_lo, s13
	v_or_b32_e32 v17, 0x800, v0
	v_cmp_gt_u32_e64 s11, s21, v17
	s_and_saveexec_b32 s14, s11
	s_cbranch_execz .LBB35_292
; %bb.289:
	v_add_nc_u32_e32 v10, s20, v17
	s_movk_i32 s15, 0x2710
	v_lshlrev_b32_e32 v17, 12, v10
	v_add3_u32 v10, v10, v17, 0x7ed55d16
	v_lshrrev_b32_e32 v17, 19, v10
	v_xor3_b32 v10, v10, v17, 0xc761c23c
	v_lshl_add_u32 v10, v10, 5, v10
	v_add_nc_u32_e32 v17, 0xe9f8cc1d, v10
	v_lshl_add_u32 v10, v10, 9, 0xaccf6200
	v_xor_b32_e32 v10, v17, v10
	v_lshlrev_b32_e32 v17, 3, v10
	v_add3_u32 v10, v10, v17, 0xfd7046c5
	v_lshrrev_b32_e32 v17, 16, v10
	v_xor3_b32 v10, v10, v17, 0xb55a4f09
	v_mul_hi_u32 v17, v10, 3
	v_sub_nc_u32_e32 v18, v10, v17
	v_lshrrev_b32_e32 v18, 1, v18
	v_add_nc_u32_e32 v17, v18, v17
	v_lshrrev_b32_e32 v17, 30, v17
	v_mul_lo_u32 v17, 0x7fffffff, v17
	v_sub_nc_u32_e32 v10, v10, v17
	v_max_u32_e32 v17, 1, v10
	v_mov_b32_e32 v10, 0
.LBB35_290:                             ; =>This Inner Loop Header: Depth=1
	v_mul_hi_u32 v18, 0xbc8f1391, v17
	s_add_i32 s15, s15, -2
	s_cmp_lg_u32 s15, 0
	v_lshrrev_b32_e32 v18, 15, v18
	v_mul_u32_u24_e32 v19, 0xadc8, v18
	v_mul_u32_u24_e32 v18, 0xd47, v18
	v_sub_nc_u32_e32 v17, v17, v19
	v_xor_b32_e32 v19, 0x7fffffff, v18
	v_sub_nc_u32_e32 v20, 0, v18
	v_mul_lo_u32 v17, 0xbc8f, v17
	v_cmp_lt_u32_e32 vcc_lo, v17, v18
	v_cndmask_b32_e32 v18, v20, v19, vcc_lo
	v_add_nc_u32_e32 v17, v18, v17
	v_mul_hi_u32 v18, 0xbc8f1391, v17
	v_lshrrev_b32_e32 v18, 15, v18
	v_mul_u32_u24_e32 v19, 0xadc8, v18
	v_mul_u32_u24_e32 v18, 0xd47, v18
	v_sub_nc_u32_e32 v19, v17, v19
	v_xor_b32_e32 v20, 0x7fffffff, v18
	v_sub_nc_u32_e32 v21, 0, v18
	v_add_nc_u32_e32 v17, -1, v17
	v_mul_lo_u32 v19, 0xbc8f, v19
	v_cvt_f32_u32_e32 v17, v17
	v_cmp_lt_u32_e32 vcc_lo, v19, v18
	v_cndmask_b32_e32 v18, v21, v20, vcc_lo
	v_add_nc_u32_e32 v18, v18, v19
	v_mul_hi_u32 v19, 0xbc8f1391, v18
	v_lshrrev_b32_e32 v19, 15, v19
	v_mul_u32_u24_e32 v20, 0xadc8, v19
	v_mul_u32_u24_e32 v19, 0xd47, v19
	v_sub_nc_u32_e32 v20, v18, v20
	v_xor_b32_e32 v21, 0x7fffffff, v19
	v_sub_nc_u32_e32 v22, 0, v19
	v_add_nc_u32_e32 v18, -1, v18
	v_mul_lo_u32 v20, 0xbc8f, v20
	v_cvt_f32_u32_e32 v18, v18
	v_fma_f32 v18, 0x30000000, v18, 0
	v_cmp_lt_u32_e32 vcc_lo, v20, v19
	v_mul_f32_e32 v18, v18, v18
	v_cndmask_b32_e32 v19, v22, v21, vcc_lo
	v_fma_f32 v21, 0x30000000, v17, 0
	v_add_nc_u32_e32 v19, v19, v20
	v_fmac_f32_e32 v18, v21, v21
	v_mul_hi_u32 v20, 0xbc8f1391, v19
	v_mul_f32_e32 v21, 0x4f800000, v18
	v_lshrrev_b32_e32 v17, 15, v20
	v_mul_u32_u24_e32 v20, 0xadc8, v17
	v_mul_u32_u24_e32 v17, 0xd47, v17
	v_sub_nc_u32_e32 v20, v19, v20
	v_xor_b32_e32 v22, 0x7fffffff, v17
	v_sub_nc_u32_e32 v23, 0, v17
	v_add_nc_u32_e32 v19, -1, v19
	v_mul_lo_u32 v20, 0xbc8f, v20
	v_cvt_f32_u32_e32 v19, v19
	v_fma_f32 v19, 0x30000000, v19, 0
	v_cmp_lt_u32_e32 vcc_lo, v20, v17
	v_cndmask_b32_e32 v17, v23, v22, vcc_lo
	v_cmp_gt_f32_e32 vcc_lo, 0xf800000, v18
	v_add_f32_e32 v22, 1.0, v10
	v_add_nc_u32_e32 v17, v17, v20
	v_cndmask_b32_e32 v18, v18, v21, vcc_lo
	v_add_nc_u32_e32 v20, -1, v17
	v_cvt_f32_u32_e32 v20, v20
	v_fma_f32 v20, 0x30000000, v20, 0
	v_mul_f32_e32 v20, v20, v20
	v_fmac_f32_e32 v20, v19, v19
	v_sqrt_f32_e32 v19, v18
	v_mul_f32_e32 v21, 0x4f800000, v20
	v_cmp_gt_f32_e64 s12, 0xf800000, v20
	v_cndmask_b32_e64 v20, v20, v21, s12
	v_add_nc_u32_e32 v21, -1, v19
	v_add_nc_u32_e32 v23, 1, v19
	v_sqrt_f32_e32 v24, v20
	v_fma_f32 v25, -v21, v19, v18
	v_fma_f32 v26, -v23, v19, v18
	v_cmp_ge_f32_e64 s13, 0, v25
	v_cndmask_b32_e64 v19, v19, v21, s13
	v_cmp_lt_f32_e64 s13, 0, v26
	v_add_nc_u32_e32 v21, -1, v24
	v_cndmask_b32_e64 v19, v19, v23, s13
	v_add_nc_u32_e32 v23, 1, v24
	v_fma_f32 v25, -v21, v24, v20
	v_mul_f32_e32 v26, 0x37800000, v19
	v_fma_f32 v27, -v23, v24, v20
	v_cmp_ge_f32_e64 s13, 0, v25
	v_cndmask_b32_e32 v19, v19, v26, vcc_lo
	v_cmp_class_f32_e64 vcc_lo, v18, 0x260
	v_cndmask_b32_e64 v21, v24, v21, s13
	v_cmp_lt_f32_e64 s13, 0, v27
	v_cndmask_b32_e32 v18, v19, v18, vcc_lo
	v_cndmask_b32_e64 v21, v21, v23, s13
	v_cmp_nge_f32_e32 vcc_lo, 1.0, v18
	v_mul_f32_e32 v19, 0x37800000, v21
	v_cndmask_b32_e32 v10, v22, v10, vcc_lo
	v_cmp_class_f32_e64 vcc_lo, v20, 0x260
	v_cndmask_b32_e64 v18, v21, v19, s12
	v_add_f32_e32 v19, 1.0, v10
	v_cndmask_b32_e32 v18, v18, v20, vcc_lo
	v_cmp_nge_f32_e32 vcc_lo, 1.0, v18
	v_cndmask_b32_e32 v10, v19, v10, vcc_lo
	s_cbranch_scc1 .LBB35_290
; %bb.291:
	v_mul_f32_e32 v10, 4.0, v10
	v_div_scale_f32 v17, null, 0x461c4000, 0x461c4000, v10
	v_rcp_f32_e32 v18, v17
	v_fma_f32 v19, -v17, v18, 1.0
	v_fmac_f32_e32 v18, v19, v18
	v_div_scale_f32 v19, vcc_lo, v10, 0x461c4000, v10
	v_mul_f32_e32 v20, v19, v18
	v_fma_f32 v21, -v17, v20, v19
	v_fmac_f32_e32 v20, v21, v18
	v_fma_f32 v17, -v17, v20, v19
	v_div_fmas_f32 v17, v17, v18, v20
	v_div_fixup_f32 v10, v17, 0x461c4000, v10
.LBB35_292:
	s_or_b32 exec_lo, exec_lo, s14
	v_or_b32_e32 v17, 0x900, v0
	v_cmp_gt_u32_e64 s12, s21, v17
	s_and_saveexec_b32 s15, s12
	s_cbranch_execz .LBB35_296
; %bb.293:
	v_add_nc_u32_e32 v11, s20, v17
	s_movk_i32 s16, 0x2710
	v_lshlrev_b32_e32 v17, 12, v11
	v_add3_u32 v11, v11, v17, 0x7ed55d16
	v_lshrrev_b32_e32 v17, 19, v11
	v_xor3_b32 v11, v11, v17, 0xc761c23c
	v_lshl_add_u32 v11, v11, 5, v11
	v_add_nc_u32_e32 v17, 0xe9f8cc1d, v11
	v_lshl_add_u32 v11, v11, 9, 0xaccf6200
	v_xor_b32_e32 v11, v17, v11
	v_lshlrev_b32_e32 v17, 3, v11
	v_add3_u32 v11, v11, v17, 0xfd7046c5
	v_lshrrev_b32_e32 v17, 16, v11
	v_xor3_b32 v11, v11, v17, 0xb55a4f09
	v_mul_hi_u32 v17, v11, 3
	v_sub_nc_u32_e32 v18, v11, v17
	v_lshrrev_b32_e32 v18, 1, v18
	v_add_nc_u32_e32 v17, v18, v17
	v_lshrrev_b32_e32 v17, 30, v17
	v_mul_lo_u32 v17, 0x7fffffff, v17
	v_sub_nc_u32_e32 v11, v11, v17
	v_max_u32_e32 v17, 1, v11
	v_mov_b32_e32 v11, 0
.LBB35_294:                             ; =>This Inner Loop Header: Depth=1
	v_mul_hi_u32 v18, 0xbc8f1391, v17
	s_add_i32 s16, s16, -2
	s_cmp_lg_u32 s16, 0
	v_lshrrev_b32_e32 v18, 15, v18
	v_mul_u32_u24_e32 v19, 0xadc8, v18
	v_mul_u32_u24_e32 v18, 0xd47, v18
	v_sub_nc_u32_e32 v17, v17, v19
	v_xor_b32_e32 v19, 0x7fffffff, v18
	v_sub_nc_u32_e32 v20, 0, v18
	v_mul_lo_u32 v17, 0xbc8f, v17
	v_cmp_lt_u32_e32 vcc_lo, v17, v18
	v_cndmask_b32_e32 v18, v20, v19, vcc_lo
	v_add_nc_u32_e32 v17, v18, v17
	v_mul_hi_u32 v18, 0xbc8f1391, v17
	v_lshrrev_b32_e32 v18, 15, v18
	v_mul_u32_u24_e32 v19, 0xadc8, v18
	v_mul_u32_u24_e32 v18, 0xd47, v18
	v_sub_nc_u32_e32 v19, v17, v19
	v_xor_b32_e32 v20, 0x7fffffff, v18
	v_sub_nc_u32_e32 v21, 0, v18
	v_add_nc_u32_e32 v17, -1, v17
	v_mul_lo_u32 v19, 0xbc8f, v19
	v_cvt_f32_u32_e32 v17, v17
	v_cmp_lt_u32_e32 vcc_lo, v19, v18
	v_cndmask_b32_e32 v18, v21, v20, vcc_lo
	v_add_nc_u32_e32 v18, v18, v19
	v_mul_hi_u32 v19, 0xbc8f1391, v18
	v_lshrrev_b32_e32 v19, 15, v19
	v_mul_u32_u24_e32 v20, 0xadc8, v19
	v_mul_u32_u24_e32 v19, 0xd47, v19
	v_sub_nc_u32_e32 v20, v18, v20
	v_xor_b32_e32 v21, 0x7fffffff, v19
	v_sub_nc_u32_e32 v22, 0, v19
	v_add_nc_u32_e32 v18, -1, v18
	v_mul_lo_u32 v20, 0xbc8f, v20
	v_cvt_f32_u32_e32 v18, v18
	v_fma_f32 v18, 0x30000000, v18, 0
	v_cmp_lt_u32_e32 vcc_lo, v20, v19
	v_mul_f32_e32 v18, v18, v18
	v_cndmask_b32_e32 v19, v22, v21, vcc_lo
	v_fma_f32 v21, 0x30000000, v17, 0
	v_add_nc_u32_e32 v19, v19, v20
	v_fmac_f32_e32 v18, v21, v21
	v_mul_hi_u32 v20, 0xbc8f1391, v19
	v_mul_f32_e32 v21, 0x4f800000, v18
	v_lshrrev_b32_e32 v17, 15, v20
	v_mul_u32_u24_e32 v20, 0xadc8, v17
	v_mul_u32_u24_e32 v17, 0xd47, v17
	v_sub_nc_u32_e32 v20, v19, v20
	v_xor_b32_e32 v22, 0x7fffffff, v17
	v_sub_nc_u32_e32 v23, 0, v17
	v_add_nc_u32_e32 v19, -1, v19
	v_mul_lo_u32 v20, 0xbc8f, v20
	v_cvt_f32_u32_e32 v19, v19
	v_fma_f32 v19, 0x30000000, v19, 0
	v_cmp_lt_u32_e32 vcc_lo, v20, v17
	v_cndmask_b32_e32 v17, v23, v22, vcc_lo
	v_cmp_gt_f32_e32 vcc_lo, 0xf800000, v18
	v_add_f32_e32 v22, 1.0, v11
	v_add_nc_u32_e32 v17, v17, v20
	v_cndmask_b32_e32 v18, v18, v21, vcc_lo
	v_add_nc_u32_e32 v20, -1, v17
	v_cvt_f32_u32_e32 v20, v20
	v_fma_f32 v20, 0x30000000, v20, 0
	v_mul_f32_e32 v20, v20, v20
	v_fmac_f32_e32 v20, v19, v19
	v_sqrt_f32_e32 v19, v18
	v_mul_f32_e32 v21, 0x4f800000, v20
	v_cmp_gt_f32_e64 s13, 0xf800000, v20
	v_cndmask_b32_e64 v20, v20, v21, s13
	v_add_nc_u32_e32 v21, -1, v19
	v_add_nc_u32_e32 v23, 1, v19
	v_sqrt_f32_e32 v24, v20
	v_fma_f32 v25, -v21, v19, v18
	v_fma_f32 v26, -v23, v19, v18
	v_cmp_ge_f32_e64 s14, 0, v25
	v_cndmask_b32_e64 v19, v19, v21, s14
	v_cmp_lt_f32_e64 s14, 0, v26
	v_add_nc_u32_e32 v21, -1, v24
	v_cndmask_b32_e64 v19, v19, v23, s14
	v_add_nc_u32_e32 v23, 1, v24
	v_fma_f32 v25, -v21, v24, v20
	v_mul_f32_e32 v26, 0x37800000, v19
	v_fma_f32 v27, -v23, v24, v20
	v_cmp_ge_f32_e64 s14, 0, v25
	v_cndmask_b32_e32 v19, v19, v26, vcc_lo
	v_cmp_class_f32_e64 vcc_lo, v18, 0x260
	v_cndmask_b32_e64 v21, v24, v21, s14
	v_cmp_lt_f32_e64 s14, 0, v27
	v_cndmask_b32_e32 v18, v19, v18, vcc_lo
	v_cndmask_b32_e64 v21, v21, v23, s14
	v_cmp_nge_f32_e32 vcc_lo, 1.0, v18
	v_mul_f32_e32 v19, 0x37800000, v21
	v_cndmask_b32_e32 v11, v22, v11, vcc_lo
	v_cmp_class_f32_e64 vcc_lo, v20, 0x260
	v_cndmask_b32_e64 v18, v21, v19, s13
	v_add_f32_e32 v19, 1.0, v11
	v_cndmask_b32_e32 v18, v18, v20, vcc_lo
	v_cmp_nge_f32_e32 vcc_lo, 1.0, v18
	v_cndmask_b32_e32 v11, v19, v11, vcc_lo
	s_cbranch_scc1 .LBB35_294
; %bb.295:
	v_mul_f32_e32 v11, 4.0, v11
	v_div_scale_f32 v17, null, 0x461c4000, 0x461c4000, v11
	v_rcp_f32_e32 v18, v17
	v_fma_f32 v19, -v17, v18, 1.0
	v_fmac_f32_e32 v18, v19, v18
	v_div_scale_f32 v19, vcc_lo, v11, 0x461c4000, v11
	v_mul_f32_e32 v20, v19, v18
	v_fma_f32 v21, -v17, v20, v19
	v_fmac_f32_e32 v20, v21, v18
	v_fma_f32 v17, -v17, v20, v19
	v_div_fmas_f32 v17, v17, v18, v20
	v_div_fixup_f32 v11, v17, 0x461c4000, v11
.LBB35_296:
	s_or_b32 exec_lo, exec_lo, s15
	v_or_b32_e32 v17, 0xa00, v0
	v_cmp_gt_u32_e64 s13, s21, v17
	s_and_saveexec_b32 s16, s13
	s_cbranch_execz .LBB35_300
; %bb.297:
	v_add_nc_u32_e32 v12, s20, v17
	s_movk_i32 s17, 0x2710
	v_lshlrev_b32_e32 v17, 12, v12
	v_add3_u32 v12, v12, v17, 0x7ed55d16
	v_lshrrev_b32_e32 v17, 19, v12
	v_xor3_b32 v12, v12, v17, 0xc761c23c
	v_lshl_add_u32 v12, v12, 5, v12
	v_add_nc_u32_e32 v17, 0xe9f8cc1d, v12
	v_lshl_add_u32 v12, v12, 9, 0xaccf6200
	v_xor_b32_e32 v12, v17, v12
	v_lshlrev_b32_e32 v17, 3, v12
	v_add3_u32 v12, v12, v17, 0xfd7046c5
	v_lshrrev_b32_e32 v17, 16, v12
	v_xor3_b32 v12, v12, v17, 0xb55a4f09
	v_mul_hi_u32 v17, v12, 3
	v_sub_nc_u32_e32 v18, v12, v17
	v_lshrrev_b32_e32 v18, 1, v18
	v_add_nc_u32_e32 v17, v18, v17
	v_lshrrev_b32_e32 v17, 30, v17
	v_mul_lo_u32 v17, 0x7fffffff, v17
	v_sub_nc_u32_e32 v12, v12, v17
	v_max_u32_e32 v17, 1, v12
	v_mov_b32_e32 v12, 0
.LBB35_298:                             ; =>This Inner Loop Header: Depth=1
	v_mul_hi_u32 v18, 0xbc8f1391, v17
	s_add_i32 s17, s17, -2
	s_cmp_lg_u32 s17, 0
	v_lshrrev_b32_e32 v18, 15, v18
	v_mul_u32_u24_e32 v19, 0xadc8, v18
	v_mul_u32_u24_e32 v18, 0xd47, v18
	v_sub_nc_u32_e32 v17, v17, v19
	v_xor_b32_e32 v19, 0x7fffffff, v18
	v_sub_nc_u32_e32 v20, 0, v18
	v_mul_lo_u32 v17, 0xbc8f, v17
	v_cmp_lt_u32_e32 vcc_lo, v17, v18
	v_cndmask_b32_e32 v18, v20, v19, vcc_lo
	v_add_nc_u32_e32 v17, v18, v17
	v_mul_hi_u32 v18, 0xbc8f1391, v17
	v_lshrrev_b32_e32 v18, 15, v18
	v_mul_u32_u24_e32 v19, 0xadc8, v18
	v_mul_u32_u24_e32 v18, 0xd47, v18
	v_sub_nc_u32_e32 v19, v17, v19
	v_xor_b32_e32 v20, 0x7fffffff, v18
	v_sub_nc_u32_e32 v21, 0, v18
	v_add_nc_u32_e32 v17, -1, v17
	v_mul_lo_u32 v19, 0xbc8f, v19
	v_cvt_f32_u32_e32 v17, v17
	v_cmp_lt_u32_e32 vcc_lo, v19, v18
	v_cndmask_b32_e32 v18, v21, v20, vcc_lo
	v_add_nc_u32_e32 v18, v18, v19
	v_mul_hi_u32 v19, 0xbc8f1391, v18
	v_lshrrev_b32_e32 v19, 15, v19
	v_mul_u32_u24_e32 v20, 0xadc8, v19
	v_mul_u32_u24_e32 v19, 0xd47, v19
	v_sub_nc_u32_e32 v20, v18, v20
	v_xor_b32_e32 v21, 0x7fffffff, v19
	v_sub_nc_u32_e32 v22, 0, v19
	v_add_nc_u32_e32 v18, -1, v18
	v_mul_lo_u32 v20, 0xbc8f, v20
	v_cvt_f32_u32_e32 v18, v18
	v_fma_f32 v18, 0x30000000, v18, 0
	v_cmp_lt_u32_e32 vcc_lo, v20, v19
	v_mul_f32_e32 v18, v18, v18
	v_cndmask_b32_e32 v19, v22, v21, vcc_lo
	v_fma_f32 v21, 0x30000000, v17, 0
	v_add_nc_u32_e32 v19, v19, v20
	v_fmac_f32_e32 v18, v21, v21
	v_mul_hi_u32 v20, 0xbc8f1391, v19
	v_mul_f32_e32 v21, 0x4f800000, v18
	v_lshrrev_b32_e32 v17, 15, v20
	v_mul_u32_u24_e32 v20, 0xadc8, v17
	v_mul_u32_u24_e32 v17, 0xd47, v17
	v_sub_nc_u32_e32 v20, v19, v20
	v_xor_b32_e32 v22, 0x7fffffff, v17
	v_sub_nc_u32_e32 v23, 0, v17
	v_add_nc_u32_e32 v19, -1, v19
	v_mul_lo_u32 v20, 0xbc8f, v20
	v_cvt_f32_u32_e32 v19, v19
	v_fma_f32 v19, 0x30000000, v19, 0
	v_cmp_lt_u32_e32 vcc_lo, v20, v17
	v_cndmask_b32_e32 v17, v23, v22, vcc_lo
	v_cmp_gt_f32_e32 vcc_lo, 0xf800000, v18
	v_add_f32_e32 v22, 1.0, v12
	v_add_nc_u32_e32 v17, v17, v20
	v_cndmask_b32_e32 v18, v18, v21, vcc_lo
	v_add_nc_u32_e32 v20, -1, v17
	v_cvt_f32_u32_e32 v20, v20
	v_fma_f32 v20, 0x30000000, v20, 0
	v_mul_f32_e32 v20, v20, v20
	v_fmac_f32_e32 v20, v19, v19
	v_sqrt_f32_e32 v19, v18
	v_mul_f32_e32 v21, 0x4f800000, v20
	v_cmp_gt_f32_e64 s14, 0xf800000, v20
	v_cndmask_b32_e64 v20, v20, v21, s14
	v_add_nc_u32_e32 v21, -1, v19
	v_add_nc_u32_e32 v23, 1, v19
	v_sqrt_f32_e32 v24, v20
	v_fma_f32 v25, -v21, v19, v18
	v_fma_f32 v26, -v23, v19, v18
	v_cmp_ge_f32_e64 s15, 0, v25
	v_cndmask_b32_e64 v19, v19, v21, s15
	v_cmp_lt_f32_e64 s15, 0, v26
	v_add_nc_u32_e32 v21, -1, v24
	v_cndmask_b32_e64 v19, v19, v23, s15
	v_add_nc_u32_e32 v23, 1, v24
	v_fma_f32 v25, -v21, v24, v20
	v_mul_f32_e32 v26, 0x37800000, v19
	v_fma_f32 v27, -v23, v24, v20
	v_cmp_ge_f32_e64 s15, 0, v25
	v_cndmask_b32_e32 v19, v19, v26, vcc_lo
	v_cmp_class_f32_e64 vcc_lo, v18, 0x260
	v_cndmask_b32_e64 v21, v24, v21, s15
	v_cmp_lt_f32_e64 s15, 0, v27
	v_cndmask_b32_e32 v18, v19, v18, vcc_lo
	v_cndmask_b32_e64 v21, v21, v23, s15
	v_cmp_nge_f32_e32 vcc_lo, 1.0, v18
	v_mul_f32_e32 v19, 0x37800000, v21
	v_cndmask_b32_e32 v12, v22, v12, vcc_lo
	v_cmp_class_f32_e64 vcc_lo, v20, 0x260
	v_cndmask_b32_e64 v18, v21, v19, s14
	v_add_f32_e32 v19, 1.0, v12
	v_cndmask_b32_e32 v18, v18, v20, vcc_lo
	v_cmp_nge_f32_e32 vcc_lo, 1.0, v18
	v_cndmask_b32_e32 v12, v19, v12, vcc_lo
	s_cbranch_scc1 .LBB35_298
; %bb.299:
	v_mul_f32_e32 v12, 4.0, v12
	v_div_scale_f32 v17, null, 0x461c4000, 0x461c4000, v12
	v_rcp_f32_e32 v18, v17
	v_fma_f32 v19, -v17, v18, 1.0
	v_fmac_f32_e32 v18, v19, v18
	v_div_scale_f32 v19, vcc_lo, v12, 0x461c4000, v12
	v_mul_f32_e32 v20, v19, v18
	v_fma_f32 v21, -v17, v20, v19
	v_fmac_f32_e32 v20, v21, v18
	v_fma_f32 v17, -v17, v20, v19
	v_div_fmas_f32 v17, v17, v18, v20
	v_div_fixup_f32 v12, v17, 0x461c4000, v12
.LBB35_300:
	s_or_b32 exec_lo, exec_lo, s16
	v_or_b32_e32 v17, 0xb00, v0
	v_cmp_gt_u32_e64 s14, s21, v17
	s_and_saveexec_b32 s17, s14
	s_cbranch_execz .LBB35_304
; %bb.301:
	v_add_nc_u32_e32 v13, s20, v17
	s_movk_i32 s18, 0x2710
	v_lshlrev_b32_e32 v17, 12, v13
	v_add3_u32 v13, v13, v17, 0x7ed55d16
	v_lshrrev_b32_e32 v17, 19, v13
	v_xor3_b32 v13, v13, v17, 0xc761c23c
	v_lshl_add_u32 v13, v13, 5, v13
	v_add_nc_u32_e32 v17, 0xe9f8cc1d, v13
	v_lshl_add_u32 v13, v13, 9, 0xaccf6200
	v_xor_b32_e32 v13, v17, v13
	v_lshlrev_b32_e32 v17, 3, v13
	v_add3_u32 v13, v13, v17, 0xfd7046c5
	v_lshrrev_b32_e32 v17, 16, v13
	v_xor3_b32 v13, v13, v17, 0xb55a4f09
	v_mul_hi_u32 v17, v13, 3
	v_sub_nc_u32_e32 v18, v13, v17
	v_lshrrev_b32_e32 v18, 1, v18
	v_add_nc_u32_e32 v17, v18, v17
	v_lshrrev_b32_e32 v17, 30, v17
	v_mul_lo_u32 v17, 0x7fffffff, v17
	v_sub_nc_u32_e32 v13, v13, v17
	v_max_u32_e32 v17, 1, v13
	v_mov_b32_e32 v13, 0
.LBB35_302:                             ; =>This Inner Loop Header: Depth=1
	v_mul_hi_u32 v18, 0xbc8f1391, v17
	s_add_i32 s18, s18, -2
	s_cmp_lg_u32 s18, 0
	v_lshrrev_b32_e32 v18, 15, v18
	v_mul_u32_u24_e32 v19, 0xadc8, v18
	v_mul_u32_u24_e32 v18, 0xd47, v18
	v_sub_nc_u32_e32 v17, v17, v19
	v_xor_b32_e32 v19, 0x7fffffff, v18
	v_sub_nc_u32_e32 v20, 0, v18
	v_mul_lo_u32 v17, 0xbc8f, v17
	v_cmp_lt_u32_e32 vcc_lo, v17, v18
	v_cndmask_b32_e32 v18, v20, v19, vcc_lo
	v_add_nc_u32_e32 v17, v18, v17
	v_mul_hi_u32 v18, 0xbc8f1391, v17
	v_lshrrev_b32_e32 v18, 15, v18
	v_mul_u32_u24_e32 v19, 0xadc8, v18
	v_mul_u32_u24_e32 v18, 0xd47, v18
	v_sub_nc_u32_e32 v19, v17, v19
	v_xor_b32_e32 v20, 0x7fffffff, v18
	v_sub_nc_u32_e32 v21, 0, v18
	v_add_nc_u32_e32 v17, -1, v17
	v_mul_lo_u32 v19, 0xbc8f, v19
	v_cvt_f32_u32_e32 v17, v17
	v_cmp_lt_u32_e32 vcc_lo, v19, v18
	v_cndmask_b32_e32 v18, v21, v20, vcc_lo
	v_add_nc_u32_e32 v18, v18, v19
	v_mul_hi_u32 v19, 0xbc8f1391, v18
	v_lshrrev_b32_e32 v19, 15, v19
	v_mul_u32_u24_e32 v20, 0xadc8, v19
	v_mul_u32_u24_e32 v19, 0xd47, v19
	v_sub_nc_u32_e32 v20, v18, v20
	v_xor_b32_e32 v21, 0x7fffffff, v19
	v_sub_nc_u32_e32 v22, 0, v19
	v_add_nc_u32_e32 v18, -1, v18
	v_mul_lo_u32 v20, 0xbc8f, v20
	v_cvt_f32_u32_e32 v18, v18
	v_fma_f32 v18, 0x30000000, v18, 0
	v_cmp_lt_u32_e32 vcc_lo, v20, v19
	v_mul_f32_e32 v18, v18, v18
	v_cndmask_b32_e32 v19, v22, v21, vcc_lo
	v_fma_f32 v21, 0x30000000, v17, 0
	v_add_nc_u32_e32 v19, v19, v20
	v_fmac_f32_e32 v18, v21, v21
	v_mul_hi_u32 v20, 0xbc8f1391, v19
	v_mul_f32_e32 v21, 0x4f800000, v18
	v_lshrrev_b32_e32 v17, 15, v20
	v_mul_u32_u24_e32 v20, 0xadc8, v17
	v_mul_u32_u24_e32 v17, 0xd47, v17
	v_sub_nc_u32_e32 v20, v19, v20
	v_xor_b32_e32 v22, 0x7fffffff, v17
	v_sub_nc_u32_e32 v23, 0, v17
	v_add_nc_u32_e32 v19, -1, v19
	v_mul_lo_u32 v20, 0xbc8f, v20
	v_cvt_f32_u32_e32 v19, v19
	v_fma_f32 v19, 0x30000000, v19, 0
	v_cmp_lt_u32_e32 vcc_lo, v20, v17
	v_cndmask_b32_e32 v17, v23, v22, vcc_lo
	v_cmp_gt_f32_e32 vcc_lo, 0xf800000, v18
	v_add_f32_e32 v22, 1.0, v13
	v_add_nc_u32_e32 v17, v17, v20
	v_cndmask_b32_e32 v18, v18, v21, vcc_lo
	v_add_nc_u32_e32 v20, -1, v17
	v_cvt_f32_u32_e32 v20, v20
	v_fma_f32 v20, 0x30000000, v20, 0
	v_mul_f32_e32 v20, v20, v20
	v_fmac_f32_e32 v20, v19, v19
	v_sqrt_f32_e32 v19, v18
	v_mul_f32_e32 v21, 0x4f800000, v20
	v_cmp_gt_f32_e64 s15, 0xf800000, v20
	v_cndmask_b32_e64 v20, v20, v21, s15
	v_add_nc_u32_e32 v21, -1, v19
	v_add_nc_u32_e32 v23, 1, v19
	v_sqrt_f32_e32 v24, v20
	v_fma_f32 v25, -v21, v19, v18
	v_fma_f32 v26, -v23, v19, v18
	v_cmp_ge_f32_e64 s16, 0, v25
	v_cndmask_b32_e64 v19, v19, v21, s16
	v_cmp_lt_f32_e64 s16, 0, v26
	v_add_nc_u32_e32 v21, -1, v24
	v_cndmask_b32_e64 v19, v19, v23, s16
	v_add_nc_u32_e32 v23, 1, v24
	v_fma_f32 v25, -v21, v24, v20
	v_mul_f32_e32 v26, 0x37800000, v19
	v_fma_f32 v27, -v23, v24, v20
	v_cmp_ge_f32_e64 s16, 0, v25
	v_cndmask_b32_e32 v19, v19, v26, vcc_lo
	v_cmp_class_f32_e64 vcc_lo, v18, 0x260
	v_cndmask_b32_e64 v21, v24, v21, s16
	v_cmp_lt_f32_e64 s16, 0, v27
	v_cndmask_b32_e32 v18, v19, v18, vcc_lo
	v_cndmask_b32_e64 v21, v21, v23, s16
	v_cmp_nge_f32_e32 vcc_lo, 1.0, v18
	v_mul_f32_e32 v19, 0x37800000, v21
	v_cndmask_b32_e32 v13, v22, v13, vcc_lo
	v_cmp_class_f32_e64 vcc_lo, v20, 0x260
	v_cndmask_b32_e64 v18, v21, v19, s15
	v_add_f32_e32 v19, 1.0, v13
	v_cndmask_b32_e32 v18, v18, v20, vcc_lo
	v_cmp_nge_f32_e32 vcc_lo, 1.0, v18
	v_cndmask_b32_e32 v13, v19, v13, vcc_lo
	s_cbranch_scc1 .LBB35_302
; %bb.303:
	v_mul_f32_e32 v13, 4.0, v13
	v_div_scale_f32 v17, null, 0x461c4000, 0x461c4000, v13
	v_rcp_f32_e32 v18, v17
	v_fma_f32 v19, -v17, v18, 1.0
	v_fmac_f32_e32 v18, v19, v18
	v_div_scale_f32 v19, vcc_lo, v13, 0x461c4000, v13
	v_mul_f32_e32 v20, v19, v18
	v_fma_f32 v21, -v17, v20, v19
	v_fmac_f32_e32 v20, v21, v18
	v_fma_f32 v17, -v17, v20, v19
	v_div_fmas_f32 v17, v17, v18, v20
	v_div_fixup_f32 v13, v17, 0x461c4000, v13
.LBB35_304:
	s_or_b32 exec_lo, exec_lo, s17
	v_or_b32_e32 v17, 0xc00, v0
	v_cmp_gt_u32_e64 s15, s21, v17
	s_and_saveexec_b32 s18, s15
	s_cbranch_execz .LBB35_308
; %bb.305:
	v_add_nc_u32_e32 v14, s20, v17
	s_movk_i32 s19, 0x2710
	v_lshlrev_b32_e32 v17, 12, v14
	v_add3_u32 v14, v14, v17, 0x7ed55d16
	v_lshrrev_b32_e32 v17, 19, v14
	v_xor3_b32 v14, v14, v17, 0xc761c23c
	v_lshl_add_u32 v14, v14, 5, v14
	v_add_nc_u32_e32 v17, 0xe9f8cc1d, v14
	v_lshl_add_u32 v14, v14, 9, 0xaccf6200
	v_xor_b32_e32 v14, v17, v14
	v_lshlrev_b32_e32 v17, 3, v14
	v_add3_u32 v14, v14, v17, 0xfd7046c5
	v_lshrrev_b32_e32 v17, 16, v14
	v_xor3_b32 v14, v14, v17, 0xb55a4f09
	v_mul_hi_u32 v17, v14, 3
	v_sub_nc_u32_e32 v18, v14, v17
	v_lshrrev_b32_e32 v18, 1, v18
	v_add_nc_u32_e32 v17, v18, v17
	v_lshrrev_b32_e32 v17, 30, v17
	v_mul_lo_u32 v17, 0x7fffffff, v17
	v_sub_nc_u32_e32 v14, v14, v17
	v_max_u32_e32 v17, 1, v14
	v_mov_b32_e32 v14, 0
.LBB35_306:                             ; =>This Inner Loop Header: Depth=1
	v_mul_hi_u32 v18, 0xbc8f1391, v17
	s_add_i32 s19, s19, -2
	s_cmp_lg_u32 s19, 0
	v_lshrrev_b32_e32 v18, 15, v18
	v_mul_u32_u24_e32 v19, 0xadc8, v18
	v_mul_u32_u24_e32 v18, 0xd47, v18
	v_sub_nc_u32_e32 v17, v17, v19
	v_xor_b32_e32 v19, 0x7fffffff, v18
	v_sub_nc_u32_e32 v20, 0, v18
	v_mul_lo_u32 v17, 0xbc8f, v17
	v_cmp_lt_u32_e32 vcc_lo, v17, v18
	v_cndmask_b32_e32 v18, v20, v19, vcc_lo
	v_add_nc_u32_e32 v17, v18, v17
	v_mul_hi_u32 v18, 0xbc8f1391, v17
	v_lshrrev_b32_e32 v18, 15, v18
	v_mul_u32_u24_e32 v19, 0xadc8, v18
	v_mul_u32_u24_e32 v18, 0xd47, v18
	v_sub_nc_u32_e32 v19, v17, v19
	v_xor_b32_e32 v20, 0x7fffffff, v18
	v_sub_nc_u32_e32 v21, 0, v18
	v_add_nc_u32_e32 v17, -1, v17
	v_mul_lo_u32 v19, 0xbc8f, v19
	v_cvt_f32_u32_e32 v17, v17
	v_cmp_lt_u32_e32 vcc_lo, v19, v18
	v_cndmask_b32_e32 v18, v21, v20, vcc_lo
	v_add_nc_u32_e32 v18, v18, v19
	v_mul_hi_u32 v19, 0xbc8f1391, v18
	v_lshrrev_b32_e32 v19, 15, v19
	v_mul_u32_u24_e32 v20, 0xadc8, v19
	v_mul_u32_u24_e32 v19, 0xd47, v19
	v_sub_nc_u32_e32 v20, v18, v20
	v_xor_b32_e32 v21, 0x7fffffff, v19
	v_sub_nc_u32_e32 v22, 0, v19
	v_add_nc_u32_e32 v18, -1, v18
	v_mul_lo_u32 v20, 0xbc8f, v20
	v_cvt_f32_u32_e32 v18, v18
	v_fma_f32 v18, 0x30000000, v18, 0
	v_cmp_lt_u32_e32 vcc_lo, v20, v19
	v_mul_f32_e32 v18, v18, v18
	v_cndmask_b32_e32 v19, v22, v21, vcc_lo
	v_fma_f32 v21, 0x30000000, v17, 0
	v_add_nc_u32_e32 v19, v19, v20
	v_fmac_f32_e32 v18, v21, v21
	v_mul_hi_u32 v20, 0xbc8f1391, v19
	v_mul_f32_e32 v21, 0x4f800000, v18
	v_lshrrev_b32_e32 v17, 15, v20
	v_mul_u32_u24_e32 v20, 0xadc8, v17
	v_mul_u32_u24_e32 v17, 0xd47, v17
	v_sub_nc_u32_e32 v20, v19, v20
	v_xor_b32_e32 v22, 0x7fffffff, v17
	v_sub_nc_u32_e32 v23, 0, v17
	v_add_nc_u32_e32 v19, -1, v19
	v_mul_lo_u32 v20, 0xbc8f, v20
	v_cvt_f32_u32_e32 v19, v19
	v_fma_f32 v19, 0x30000000, v19, 0
	v_cmp_lt_u32_e32 vcc_lo, v20, v17
	v_cndmask_b32_e32 v17, v23, v22, vcc_lo
	v_cmp_gt_f32_e32 vcc_lo, 0xf800000, v18
	v_add_f32_e32 v22, 1.0, v14
	v_add_nc_u32_e32 v17, v17, v20
	v_cndmask_b32_e32 v18, v18, v21, vcc_lo
	v_add_nc_u32_e32 v20, -1, v17
	v_cvt_f32_u32_e32 v20, v20
	v_fma_f32 v20, 0x30000000, v20, 0
	v_mul_f32_e32 v20, v20, v20
	v_fmac_f32_e32 v20, v19, v19
	v_sqrt_f32_e32 v19, v18
	v_mul_f32_e32 v21, 0x4f800000, v20
	v_cmp_gt_f32_e64 s16, 0xf800000, v20
	v_cndmask_b32_e64 v20, v20, v21, s16
	v_add_nc_u32_e32 v21, -1, v19
	v_add_nc_u32_e32 v23, 1, v19
	v_sqrt_f32_e32 v24, v20
	v_fma_f32 v25, -v21, v19, v18
	v_fma_f32 v26, -v23, v19, v18
	v_cmp_ge_f32_e64 s17, 0, v25
	v_cndmask_b32_e64 v19, v19, v21, s17
	v_cmp_lt_f32_e64 s17, 0, v26
	v_add_nc_u32_e32 v21, -1, v24
	v_cndmask_b32_e64 v19, v19, v23, s17
	v_add_nc_u32_e32 v23, 1, v24
	v_fma_f32 v25, -v21, v24, v20
	v_mul_f32_e32 v26, 0x37800000, v19
	v_fma_f32 v27, -v23, v24, v20
	v_cmp_ge_f32_e64 s17, 0, v25
	v_cndmask_b32_e32 v19, v19, v26, vcc_lo
	v_cmp_class_f32_e64 vcc_lo, v18, 0x260
	v_cndmask_b32_e64 v21, v24, v21, s17
	v_cmp_lt_f32_e64 s17, 0, v27
	v_cndmask_b32_e32 v18, v19, v18, vcc_lo
	v_cndmask_b32_e64 v21, v21, v23, s17
	v_cmp_nge_f32_e32 vcc_lo, 1.0, v18
	v_mul_f32_e32 v19, 0x37800000, v21
	v_cndmask_b32_e32 v14, v22, v14, vcc_lo
	v_cmp_class_f32_e64 vcc_lo, v20, 0x260
	v_cndmask_b32_e64 v18, v21, v19, s16
	v_add_f32_e32 v19, 1.0, v14
	v_cndmask_b32_e32 v18, v18, v20, vcc_lo
	v_cmp_nge_f32_e32 vcc_lo, 1.0, v18
	v_cndmask_b32_e32 v14, v19, v14, vcc_lo
	s_cbranch_scc1 .LBB35_306
; %bb.307:
	v_mul_f32_e32 v14, 4.0, v14
	v_div_scale_f32 v17, null, 0x461c4000, 0x461c4000, v14
	v_rcp_f32_e32 v18, v17
	v_fma_f32 v19, -v17, v18, 1.0
	v_fmac_f32_e32 v18, v19, v18
	v_div_scale_f32 v19, vcc_lo, v14, 0x461c4000, v14
	v_mul_f32_e32 v20, v19, v18
	v_fma_f32 v21, -v17, v20, v19
	v_fmac_f32_e32 v20, v21, v18
	v_fma_f32 v17, -v17, v20, v19
	v_div_fmas_f32 v17, v17, v18, v20
	v_div_fixup_f32 v14, v17, 0x461c4000, v14
.LBB35_308:
	s_or_b32 exec_lo, exec_lo, s18
	v_or_b32_e32 v17, 0xd00, v0
	v_cmp_gt_u32_e64 s16, s21, v17
	s_and_saveexec_b32 s19, s16
	s_cbranch_execz .LBB35_312
; %bb.309:
	v_add_nc_u32_e32 v15, s20, v17
	s_movk_i32 s22, 0x2710
	v_lshlrev_b32_e32 v17, 12, v15
	v_add3_u32 v15, v15, v17, 0x7ed55d16
	v_lshrrev_b32_e32 v17, 19, v15
	v_xor3_b32 v15, v15, v17, 0xc761c23c
	v_lshl_add_u32 v15, v15, 5, v15
	v_add_nc_u32_e32 v17, 0xe9f8cc1d, v15
	v_lshl_add_u32 v15, v15, 9, 0xaccf6200
	v_xor_b32_e32 v15, v17, v15
	v_lshlrev_b32_e32 v17, 3, v15
	v_add3_u32 v15, v15, v17, 0xfd7046c5
	v_lshrrev_b32_e32 v17, 16, v15
	v_xor3_b32 v15, v15, v17, 0xb55a4f09
	v_mul_hi_u32 v17, v15, 3
	v_sub_nc_u32_e32 v18, v15, v17
	v_lshrrev_b32_e32 v18, 1, v18
	v_add_nc_u32_e32 v17, v18, v17
	v_lshrrev_b32_e32 v17, 30, v17
	v_mul_lo_u32 v17, 0x7fffffff, v17
	v_sub_nc_u32_e32 v15, v15, v17
	v_max_u32_e32 v17, 1, v15
	v_mov_b32_e32 v15, 0
.LBB35_310:                             ; =>This Inner Loop Header: Depth=1
	v_mul_hi_u32 v18, 0xbc8f1391, v17
	s_add_i32 s22, s22, -2
	s_cmp_lg_u32 s22, 0
	v_lshrrev_b32_e32 v18, 15, v18
	v_mul_u32_u24_e32 v19, 0xadc8, v18
	v_mul_u32_u24_e32 v18, 0xd47, v18
	v_sub_nc_u32_e32 v17, v17, v19
	v_xor_b32_e32 v19, 0x7fffffff, v18
	v_sub_nc_u32_e32 v20, 0, v18
	v_mul_lo_u32 v17, 0xbc8f, v17
	v_cmp_lt_u32_e32 vcc_lo, v17, v18
	v_cndmask_b32_e32 v18, v20, v19, vcc_lo
	v_add_nc_u32_e32 v17, v18, v17
	v_mul_hi_u32 v18, 0xbc8f1391, v17
	v_lshrrev_b32_e32 v18, 15, v18
	v_mul_u32_u24_e32 v19, 0xadc8, v18
	v_mul_u32_u24_e32 v18, 0xd47, v18
	v_sub_nc_u32_e32 v19, v17, v19
	v_xor_b32_e32 v20, 0x7fffffff, v18
	v_sub_nc_u32_e32 v21, 0, v18
	v_add_nc_u32_e32 v17, -1, v17
	v_mul_lo_u32 v19, 0xbc8f, v19
	v_cvt_f32_u32_e32 v17, v17
	v_cmp_lt_u32_e32 vcc_lo, v19, v18
	v_cndmask_b32_e32 v18, v21, v20, vcc_lo
	v_add_nc_u32_e32 v18, v18, v19
	v_mul_hi_u32 v19, 0xbc8f1391, v18
	v_lshrrev_b32_e32 v19, 15, v19
	v_mul_u32_u24_e32 v20, 0xadc8, v19
	v_mul_u32_u24_e32 v19, 0xd47, v19
	v_sub_nc_u32_e32 v20, v18, v20
	v_xor_b32_e32 v21, 0x7fffffff, v19
	v_sub_nc_u32_e32 v22, 0, v19
	v_add_nc_u32_e32 v18, -1, v18
	v_mul_lo_u32 v20, 0xbc8f, v20
	v_cvt_f32_u32_e32 v18, v18
	v_fma_f32 v18, 0x30000000, v18, 0
	v_cmp_lt_u32_e32 vcc_lo, v20, v19
	v_mul_f32_e32 v18, v18, v18
	v_cndmask_b32_e32 v19, v22, v21, vcc_lo
	v_fma_f32 v21, 0x30000000, v17, 0
	v_add_nc_u32_e32 v19, v19, v20
	v_fmac_f32_e32 v18, v21, v21
	v_mul_hi_u32 v20, 0xbc8f1391, v19
	v_mul_f32_e32 v21, 0x4f800000, v18
	v_lshrrev_b32_e32 v17, 15, v20
	v_mul_u32_u24_e32 v20, 0xadc8, v17
	v_mul_u32_u24_e32 v17, 0xd47, v17
	v_sub_nc_u32_e32 v20, v19, v20
	v_xor_b32_e32 v22, 0x7fffffff, v17
	v_sub_nc_u32_e32 v23, 0, v17
	v_add_nc_u32_e32 v19, -1, v19
	v_mul_lo_u32 v20, 0xbc8f, v20
	v_cvt_f32_u32_e32 v19, v19
	v_fma_f32 v19, 0x30000000, v19, 0
	v_cmp_lt_u32_e32 vcc_lo, v20, v17
	v_cndmask_b32_e32 v17, v23, v22, vcc_lo
	v_cmp_gt_f32_e32 vcc_lo, 0xf800000, v18
	v_add_f32_e32 v22, 1.0, v15
	v_add_nc_u32_e32 v17, v17, v20
	v_cndmask_b32_e32 v18, v18, v21, vcc_lo
	v_add_nc_u32_e32 v20, -1, v17
	v_cvt_f32_u32_e32 v20, v20
	v_fma_f32 v20, 0x30000000, v20, 0
	v_mul_f32_e32 v20, v20, v20
	v_fmac_f32_e32 v20, v19, v19
	v_sqrt_f32_e32 v19, v18
	v_mul_f32_e32 v21, 0x4f800000, v20
	v_cmp_gt_f32_e64 s17, 0xf800000, v20
	v_cndmask_b32_e64 v20, v20, v21, s17
	v_add_nc_u32_e32 v21, -1, v19
	v_add_nc_u32_e32 v23, 1, v19
	v_sqrt_f32_e32 v24, v20
	v_fma_f32 v25, -v21, v19, v18
	v_fma_f32 v26, -v23, v19, v18
	v_cmp_ge_f32_e64 s18, 0, v25
	v_cndmask_b32_e64 v19, v19, v21, s18
	v_cmp_lt_f32_e64 s18, 0, v26
	v_add_nc_u32_e32 v21, -1, v24
	v_cndmask_b32_e64 v19, v19, v23, s18
	v_add_nc_u32_e32 v23, 1, v24
	v_fma_f32 v25, -v21, v24, v20
	v_mul_f32_e32 v26, 0x37800000, v19
	v_fma_f32 v27, -v23, v24, v20
	v_cmp_ge_f32_e64 s18, 0, v25
	v_cndmask_b32_e32 v19, v19, v26, vcc_lo
	v_cmp_class_f32_e64 vcc_lo, v18, 0x260
	v_cndmask_b32_e64 v21, v24, v21, s18
	v_cmp_lt_f32_e64 s18, 0, v27
	v_cndmask_b32_e32 v18, v19, v18, vcc_lo
	v_cndmask_b32_e64 v21, v21, v23, s18
	v_cmp_nge_f32_e32 vcc_lo, 1.0, v18
	v_mul_f32_e32 v19, 0x37800000, v21
	v_cndmask_b32_e32 v15, v22, v15, vcc_lo
	v_cmp_class_f32_e64 vcc_lo, v20, 0x260
	v_cndmask_b32_e64 v18, v21, v19, s17
	v_add_f32_e32 v19, 1.0, v15
	v_cndmask_b32_e32 v18, v18, v20, vcc_lo
	v_cmp_nge_f32_e32 vcc_lo, 1.0, v18
	v_cndmask_b32_e32 v15, v19, v15, vcc_lo
	s_cbranch_scc1 .LBB35_310
; %bb.311:
	v_mul_f32_e32 v15, 4.0, v15
	v_div_scale_f32 v17, null, 0x461c4000, 0x461c4000, v15
	v_rcp_f32_e32 v18, v17
	v_fma_f32 v19, -v17, v18, 1.0
	v_fmac_f32_e32 v18, v19, v18
	v_div_scale_f32 v19, vcc_lo, v15, 0x461c4000, v15
	v_mul_f32_e32 v20, v19, v18
	v_fma_f32 v21, -v17, v20, v19
	v_fmac_f32_e32 v20, v21, v18
	v_fma_f32 v17, -v17, v20, v19
	v_div_fmas_f32 v17, v17, v18, v20
	v_div_fixup_f32 v15, v17, 0x461c4000, v15
.LBB35_312:
	s_or_b32 exec_lo, exec_lo, s19
	v_or_b32_e32 v17, 0xe00, v0
	v_cmp_gt_u32_e64 s17, s21, v17
	s_and_saveexec_b32 s22, s17
	s_cbranch_execz .LBB35_316
; %bb.313:
	v_add_nc_u32_e32 v16, s20, v17
	s_movk_i32 s23, 0x2710
	v_lshlrev_b32_e32 v17, 12, v16
	v_add3_u32 v16, v16, v17, 0x7ed55d16
	v_lshrrev_b32_e32 v17, 19, v16
	v_xor3_b32 v16, v16, v17, 0xc761c23c
	v_lshl_add_u32 v16, v16, 5, v16
	v_add_nc_u32_e32 v17, 0xe9f8cc1d, v16
	v_lshl_add_u32 v16, v16, 9, 0xaccf6200
	v_xor_b32_e32 v16, v17, v16
	v_lshlrev_b32_e32 v17, 3, v16
	v_add3_u32 v16, v16, v17, 0xfd7046c5
	v_lshrrev_b32_e32 v17, 16, v16
	v_xor3_b32 v16, v16, v17, 0xb55a4f09
	v_mul_hi_u32 v17, v16, 3
	v_sub_nc_u32_e32 v18, v16, v17
	v_lshrrev_b32_e32 v18, 1, v18
	v_add_nc_u32_e32 v17, v18, v17
	v_lshrrev_b32_e32 v17, 30, v17
	v_mul_lo_u32 v17, 0x7fffffff, v17
	v_sub_nc_u32_e32 v16, v16, v17
	v_max_u32_e32 v17, 1, v16
	v_mov_b32_e32 v16, 0
.LBB35_314:                             ; =>This Inner Loop Header: Depth=1
	v_mul_hi_u32 v18, 0xbc8f1391, v17
	s_add_i32 s23, s23, -2
	s_cmp_lg_u32 s23, 0
	v_lshrrev_b32_e32 v18, 15, v18
	v_mul_u32_u24_e32 v19, 0xadc8, v18
	v_mul_u32_u24_e32 v18, 0xd47, v18
	v_sub_nc_u32_e32 v17, v17, v19
	v_xor_b32_e32 v19, 0x7fffffff, v18
	v_sub_nc_u32_e32 v20, 0, v18
	v_mul_lo_u32 v17, 0xbc8f, v17
	v_cmp_lt_u32_e32 vcc_lo, v17, v18
	v_cndmask_b32_e32 v18, v20, v19, vcc_lo
	v_add_nc_u32_e32 v17, v18, v17
	v_mul_hi_u32 v18, 0xbc8f1391, v17
	v_lshrrev_b32_e32 v18, 15, v18
	v_mul_u32_u24_e32 v19, 0xadc8, v18
	v_mul_u32_u24_e32 v18, 0xd47, v18
	v_sub_nc_u32_e32 v19, v17, v19
	v_xor_b32_e32 v20, 0x7fffffff, v18
	v_sub_nc_u32_e32 v21, 0, v18
	v_add_nc_u32_e32 v17, -1, v17
	v_mul_lo_u32 v19, 0xbc8f, v19
	v_cvt_f32_u32_e32 v17, v17
	v_cmp_lt_u32_e32 vcc_lo, v19, v18
	v_cndmask_b32_e32 v18, v21, v20, vcc_lo
	v_add_nc_u32_e32 v18, v18, v19
	v_mul_hi_u32 v19, 0xbc8f1391, v18
	v_lshrrev_b32_e32 v19, 15, v19
	v_mul_u32_u24_e32 v20, 0xadc8, v19
	v_mul_u32_u24_e32 v19, 0xd47, v19
	v_sub_nc_u32_e32 v20, v18, v20
	v_xor_b32_e32 v21, 0x7fffffff, v19
	v_sub_nc_u32_e32 v22, 0, v19
	v_add_nc_u32_e32 v18, -1, v18
	v_mul_lo_u32 v20, 0xbc8f, v20
	v_cvt_f32_u32_e32 v18, v18
	v_fma_f32 v18, 0x30000000, v18, 0
	v_cmp_lt_u32_e32 vcc_lo, v20, v19
	v_mul_f32_e32 v18, v18, v18
	v_cndmask_b32_e32 v19, v22, v21, vcc_lo
	v_fma_f32 v21, 0x30000000, v17, 0
	v_add_nc_u32_e32 v19, v19, v20
	v_fmac_f32_e32 v18, v21, v21
	v_mul_hi_u32 v20, 0xbc8f1391, v19
	v_mul_f32_e32 v21, 0x4f800000, v18
	v_lshrrev_b32_e32 v17, 15, v20
	v_mul_u32_u24_e32 v20, 0xadc8, v17
	v_mul_u32_u24_e32 v17, 0xd47, v17
	v_sub_nc_u32_e32 v20, v19, v20
	v_xor_b32_e32 v22, 0x7fffffff, v17
	v_sub_nc_u32_e32 v23, 0, v17
	v_add_nc_u32_e32 v19, -1, v19
	v_mul_lo_u32 v20, 0xbc8f, v20
	v_cvt_f32_u32_e32 v19, v19
	v_fma_f32 v19, 0x30000000, v19, 0
	v_cmp_lt_u32_e32 vcc_lo, v20, v17
	v_cndmask_b32_e32 v17, v23, v22, vcc_lo
	v_cmp_gt_f32_e32 vcc_lo, 0xf800000, v18
	v_add_f32_e32 v22, 1.0, v16
	v_add_nc_u32_e32 v17, v17, v20
	v_cndmask_b32_e32 v18, v18, v21, vcc_lo
	v_add_nc_u32_e32 v20, -1, v17
	v_cvt_f32_u32_e32 v20, v20
	v_fma_f32 v20, 0x30000000, v20, 0
	v_mul_f32_e32 v20, v20, v20
	v_fmac_f32_e32 v20, v19, v19
	v_sqrt_f32_e32 v19, v18
	v_mul_f32_e32 v21, 0x4f800000, v20
	v_cmp_gt_f32_e64 s18, 0xf800000, v20
	v_cndmask_b32_e64 v20, v20, v21, s18
	v_add_nc_u32_e32 v21, -1, v19
	v_add_nc_u32_e32 v23, 1, v19
	v_sqrt_f32_e32 v24, v20
	v_fma_f32 v25, -v21, v19, v18
	v_fma_f32 v26, -v23, v19, v18
	v_cmp_ge_f32_e64 s19, 0, v25
	v_cndmask_b32_e64 v19, v19, v21, s19
	v_cmp_lt_f32_e64 s19, 0, v26
	v_add_nc_u32_e32 v21, -1, v24
	v_cndmask_b32_e64 v19, v19, v23, s19
	v_add_nc_u32_e32 v23, 1, v24
	v_fma_f32 v25, -v21, v24, v20
	v_mul_f32_e32 v26, 0x37800000, v19
	v_fma_f32 v27, -v23, v24, v20
	v_cmp_ge_f32_e64 s19, 0, v25
	v_cndmask_b32_e32 v19, v19, v26, vcc_lo
	v_cmp_class_f32_e64 vcc_lo, v18, 0x260
	v_cndmask_b32_e64 v21, v24, v21, s19
	v_cmp_lt_f32_e64 s19, 0, v27
	v_cndmask_b32_e32 v18, v19, v18, vcc_lo
	v_cndmask_b32_e64 v21, v21, v23, s19
	v_cmp_nge_f32_e32 vcc_lo, 1.0, v18
	v_mul_f32_e32 v19, 0x37800000, v21
	v_cndmask_b32_e32 v16, v22, v16, vcc_lo
	v_cmp_class_f32_e64 vcc_lo, v20, 0x260
	v_cndmask_b32_e64 v18, v21, v19, s18
	v_add_f32_e32 v19, 1.0, v16
	v_cndmask_b32_e32 v18, v18, v20, vcc_lo
	v_cmp_nge_f32_e32 vcc_lo, 1.0, v18
	v_cndmask_b32_e32 v16, v19, v16, vcc_lo
	s_cbranch_scc1 .LBB35_314
; %bb.315:
	v_mul_f32_e32 v16, 4.0, v16
	v_div_scale_f32 v17, null, 0x461c4000, 0x461c4000, v16
	v_rcp_f32_e32 v18, v17
	v_fma_f32 v19, -v17, v18, 1.0
	v_fmac_f32_e32 v18, v19, v18
	v_div_scale_f32 v19, vcc_lo, v16, 0x461c4000, v16
	v_mul_f32_e32 v20, v19, v18
	v_fma_f32 v21, -v17, v20, v19
	v_fmac_f32_e32 v20, v21, v18
	v_fma_f32 v17, -v17, v20, v19
	v_div_fmas_f32 v17, v17, v18, v20
	v_div_fixup_f32 v16, v17, 0x461c4000, v16
.LBB35_316:
	s_or_b32 exec_lo, exec_lo, s22
	v_or_b32_e32 v17, 0xf00, v0
	v_cmp_gt_u32_e64 s18, s21, v17
	s_and_saveexec_b32 s22, s18
	s_cbranch_execz .LBB35_320
; %bb.317:
	v_add_nc_u32_e32 v2, s20, v17
	s_movk_i32 s23, 0x2710
	v_lshlrev_b32_e32 v17, 12, v2
	v_add3_u32 v2, v2, v17, 0x7ed55d16
	v_lshrrev_b32_e32 v17, 19, v2
	v_xor3_b32 v2, v2, v17, 0xc761c23c
	v_lshl_add_u32 v2, v2, 5, v2
	v_add_nc_u32_e32 v17, 0xe9f8cc1d, v2
	v_lshl_add_u32 v2, v2, 9, 0xaccf6200
	v_xor_b32_e32 v2, v17, v2
	v_lshlrev_b32_e32 v17, 3, v2
	v_add3_u32 v2, v2, v17, 0xfd7046c5
	v_lshrrev_b32_e32 v17, 16, v2
	v_xor3_b32 v2, v2, v17, 0xb55a4f09
	v_mul_hi_u32 v17, v2, 3
	v_sub_nc_u32_e32 v18, v2, v17
	v_lshrrev_b32_e32 v18, 1, v18
	v_add_nc_u32_e32 v17, v18, v17
	v_lshrrev_b32_e32 v17, 30, v17
	v_mul_lo_u32 v17, 0x7fffffff, v17
	v_sub_nc_u32_e32 v2, v2, v17
	v_max_u32_e32 v17, 1, v2
	v_mov_b32_e32 v2, 0
.LBB35_318:                             ; =>This Inner Loop Header: Depth=1
	v_mul_hi_u32 v18, 0xbc8f1391, v17
	s_add_i32 s23, s23, -2
	s_cmp_lg_u32 s23, 0
	v_lshrrev_b32_e32 v18, 15, v18
	v_mul_u32_u24_e32 v19, 0xadc8, v18
	v_mul_u32_u24_e32 v18, 0xd47, v18
	v_sub_nc_u32_e32 v17, v17, v19
	v_xor_b32_e32 v19, 0x7fffffff, v18
	v_sub_nc_u32_e32 v20, 0, v18
	v_mul_lo_u32 v17, 0xbc8f, v17
	v_cmp_lt_u32_e32 vcc_lo, v17, v18
	v_cndmask_b32_e32 v18, v20, v19, vcc_lo
	v_add_nc_u32_e32 v17, v18, v17
	v_mul_hi_u32 v18, 0xbc8f1391, v17
	v_lshrrev_b32_e32 v18, 15, v18
	v_mul_u32_u24_e32 v19, 0xadc8, v18
	v_mul_u32_u24_e32 v18, 0xd47, v18
	v_sub_nc_u32_e32 v19, v17, v19
	v_xor_b32_e32 v20, 0x7fffffff, v18
	v_sub_nc_u32_e32 v21, 0, v18
	v_add_nc_u32_e32 v17, -1, v17
	v_mul_lo_u32 v19, 0xbc8f, v19
	v_cvt_f32_u32_e32 v17, v17
	v_cmp_lt_u32_e32 vcc_lo, v19, v18
	v_cndmask_b32_e32 v18, v21, v20, vcc_lo
	v_add_nc_u32_e32 v18, v18, v19
	v_mul_hi_u32 v19, 0xbc8f1391, v18
	v_lshrrev_b32_e32 v19, 15, v19
	v_mul_u32_u24_e32 v20, 0xadc8, v19
	v_mul_u32_u24_e32 v19, 0xd47, v19
	v_sub_nc_u32_e32 v20, v18, v20
	v_xor_b32_e32 v21, 0x7fffffff, v19
	v_sub_nc_u32_e32 v22, 0, v19
	v_add_nc_u32_e32 v18, -1, v18
	v_mul_lo_u32 v20, 0xbc8f, v20
	v_cvt_f32_u32_e32 v18, v18
	v_fma_f32 v18, 0x30000000, v18, 0
	v_cmp_lt_u32_e32 vcc_lo, v20, v19
	v_mul_f32_e32 v18, v18, v18
	v_cndmask_b32_e32 v19, v22, v21, vcc_lo
	v_fma_f32 v21, 0x30000000, v17, 0
	v_add_nc_u32_e32 v19, v19, v20
	v_fmac_f32_e32 v18, v21, v21
	v_mul_hi_u32 v20, 0xbc8f1391, v19
	v_mul_f32_e32 v21, 0x4f800000, v18
	v_lshrrev_b32_e32 v17, 15, v20
	v_mul_u32_u24_e32 v20, 0xadc8, v17
	v_mul_u32_u24_e32 v17, 0xd47, v17
	v_sub_nc_u32_e32 v20, v19, v20
	v_xor_b32_e32 v22, 0x7fffffff, v17
	v_sub_nc_u32_e32 v23, 0, v17
	v_add_nc_u32_e32 v19, -1, v19
	v_mul_lo_u32 v20, 0xbc8f, v20
	v_cvt_f32_u32_e32 v19, v19
	v_fma_f32 v19, 0x30000000, v19, 0
	v_cmp_lt_u32_e32 vcc_lo, v20, v17
	v_cndmask_b32_e32 v17, v23, v22, vcc_lo
	v_cmp_gt_f32_e32 vcc_lo, 0xf800000, v18
	v_add_f32_e32 v22, 1.0, v2
	v_add_nc_u32_e32 v17, v17, v20
	v_cndmask_b32_e32 v18, v18, v21, vcc_lo
	v_add_nc_u32_e32 v20, -1, v17
	v_cvt_f32_u32_e32 v20, v20
	v_fma_f32 v20, 0x30000000, v20, 0
	v_mul_f32_e32 v20, v20, v20
	v_fmac_f32_e32 v20, v19, v19
	v_sqrt_f32_e32 v19, v18
	v_mul_f32_e32 v21, 0x4f800000, v20
	v_cmp_gt_f32_e64 s19, 0xf800000, v20
	v_cndmask_b32_e64 v20, v20, v21, s19
	v_add_nc_u32_e32 v21, -1, v19
	v_add_nc_u32_e32 v23, 1, v19
	v_sqrt_f32_e32 v24, v20
	v_fma_f32 v25, -v21, v19, v18
	v_fma_f32 v26, -v23, v19, v18
	v_cmp_ge_f32_e64 s20, 0, v25
	v_cndmask_b32_e64 v19, v19, v21, s20
	v_cmp_lt_f32_e64 s20, 0, v26
	v_add_nc_u32_e32 v21, -1, v24
	v_cndmask_b32_e64 v19, v19, v23, s20
	v_add_nc_u32_e32 v23, 1, v24
	v_fma_f32 v25, -v21, v24, v20
	v_mul_f32_e32 v26, 0x37800000, v19
	v_fma_f32 v27, -v23, v24, v20
	v_cmp_ge_f32_e64 s20, 0, v25
	v_cndmask_b32_e32 v19, v19, v26, vcc_lo
	v_cmp_class_f32_e64 vcc_lo, v18, 0x260
	v_cndmask_b32_e64 v21, v24, v21, s20
	v_cmp_lt_f32_e64 s20, 0, v27
	v_cndmask_b32_e32 v18, v19, v18, vcc_lo
	v_cndmask_b32_e64 v21, v21, v23, s20
	v_cmp_nge_f32_e32 vcc_lo, 1.0, v18
	v_mul_f32_e32 v19, 0x37800000, v21
	v_cndmask_b32_e32 v2, v22, v2, vcc_lo
	v_cmp_class_f32_e64 vcc_lo, v20, 0x260
	v_cndmask_b32_e64 v18, v21, v19, s19
	v_add_f32_e32 v19, 1.0, v2
	v_cndmask_b32_e32 v18, v18, v20, vcc_lo
	v_cmp_nge_f32_e32 vcc_lo, 1.0, v18
	v_cndmask_b32_e32 v2, v19, v2, vcc_lo
	s_cbranch_scc1 .LBB35_318
; %bb.319:
	v_mul_f32_e32 v2, 4.0, v2
	v_div_scale_f32 v17, null, 0x461c4000, 0x461c4000, v2
	v_rcp_f32_e32 v18, v17
	v_fma_f32 v19, -v17, v18, 1.0
	v_fmac_f32_e32 v18, v19, v18
	v_div_scale_f32 v19, vcc_lo, v2, 0x461c4000, v2
	v_mul_f32_e32 v20, v19, v18
	v_fma_f32 v21, -v17, v20, v19
	v_fmac_f32_e32 v20, v21, v18
	v_fma_f32 v17, -v17, v20, v19
	v_div_fmas_f32 v17, v17, v18, v20
	v_div_fixup_f32 v2, v17, 0x461c4000, v2
.LBB35_320:
	s_or_b32 exec_lo, exec_lo, s22
	v_add_f32_e32 v3, v1, v3
	v_cndmask_b32_e64 v1, v1, v3, s0
	v_add_f32_e32 v3, v4, v1
	v_cndmask_b32_e64 v1, v1, v3, s1
	s_min_u32 s1, s21, 0x100
	v_add_f32_e32 v3, v5, v1
	v_cndmask_b32_e64 v1, v1, v3, s2
	v_add_f32_e32 v3, v6, v1
	v_cndmask_b32_e64 v1, v1, v3, s3
	;; [unrolled: 2-line block ×11, first 2 shown]
	v_mbcnt_lo_u32_b32 v3, -1, 0
	v_add_f32_e32 v4, v16, v1
	v_cmp_ne_u32_e32 vcc_lo, 31, v3
	v_add_nc_u32_e32 v6, 1, v3
	v_cmp_gt_u32_e64 s0, 28, v3
	v_add_nc_u32_e32 v7, 2, v3
	v_cndmask_b32_e64 v1, v1, v4, s17
	v_add_co_ci_u32_e64 v4, null, 0, v3, vcc_lo
	v_cmp_gt_u32_e32 vcc_lo, 30, v3
	v_add_f32_e32 v2, v2, v1
	v_lshlrev_b32_e32 v4, 2, v4
	v_cndmask_b32_e64 v5, 0, 2, vcc_lo
	v_cndmask_b32_e64 v1, v1, v2, s18
	v_add_lshl_u32 v5, v5, v3, 2
	ds_bpermute_b32 v2, v4, v1
	v_and_b32_e32 v4, 0xe0, v0
	v_sub_nc_u32_e64 v4, s1, v4 clamp
	v_cmp_lt_u32_e32 vcc_lo, v6, v4
	v_cndmask_b32_e64 v6, 0, 4, s0
	v_cmp_lt_u32_e64 s0, v7, v4
	v_add_nc_u32_e32 v7, 4, v3
	v_add_lshl_u32 v6, v6, v3, 2
	s_waitcnt lgkmcnt(0)
	v_add_f32_e32 v2, v1, v2
	v_cndmask_b32_e32 v2, v1, v2, vcc_lo
	ds_bpermute_b32 v5, v5, v2
	s_waitcnt lgkmcnt(0)
	v_add_f32_e32 v5, v2, v5
	v_cndmask_b32_e64 v2, v2, v5, s0
	v_cmp_gt_u32_e64 s0, 24, v3
	ds_bpermute_b32 v5, v6, v2
	v_cndmask_b32_e64 v6, 0, 8, s0
	v_cmp_lt_u32_e64 s0, v7, v4
	v_add_nc_u32_e32 v7, 8, v3
	v_add_lshl_u32 v6, v6, v3, 2
	s_waitcnt lgkmcnt(0)
	v_add_f32_e32 v5, v2, v5
	v_cndmask_b32_e64 v5, v2, v5, s0
	v_lshlrev_b32_e32 v2, 2, v3
	v_cmp_lt_u32_e64 s0, v7, v4
	v_add_nc_u32_e32 v7, 16, v3
	ds_bpermute_b32 v6, v6, v5
	v_or_b32_e32 v8, 64, v2
	s_waitcnt lgkmcnt(0)
	v_add_f32_e32 v6, v5, v6
	v_cndmask_b32_e64 v5, v5, v6, s0
	v_cmp_lt_u32_e64 s0, v7, v4
	ds_bpermute_b32 v6, v8, v5
	s_waitcnt lgkmcnt(0)
	v_add_f32_e32 v6, v5, v6
	v_cndmask_b32_e64 v4, v5, v6, s0
	s_mov_b32 s0, exec_lo
	v_cndmask_b32_e32 v1, v1, v4, vcc_lo
	v_cmpx_eq_u32_e32 0, v3
; %bb.321:
	v_lshrrev_b32_e32 v4, 3, v0
	v_and_b32_e32 v4, 28, v4
	ds_write_b32 v4, v1 offset:192
; %bb.322:
	s_or_b32 exec_lo, exec_lo, s0
	s_mov_b32 s2, exec_lo
	s_waitcnt lgkmcnt(0)
	s_barrier
	buffer_gl0_inv
	v_cmpx_gt_u32_e32 8, v0
	s_cbranch_execz .LBB35_324
; %bb.323:
	ds_read_b32 v1, v2 offset:192
	v_and_b32_e32 v4, 7, v3
	s_add_i32 s1, s1, 31
	v_or_b32_e32 v2, 16, v2
	s_lshr_b32 s1, s1, 5
	v_cmp_ne_u32_e32 vcc_lo, 7, v4
	v_add_nc_u32_e32 v7, 1, v4
	v_add_co_ci_u32_e64 v5, null, 0, v3, vcc_lo
	v_cmp_gt_u32_e32 vcc_lo, 6, v4
	v_lshlrev_b32_e32 v5, 2, v5
	v_cndmask_b32_e64 v6, 0, 2, vcc_lo
	v_cmp_gt_u32_e32 vcc_lo, s1, v7
	s_waitcnt lgkmcnt(0)
	ds_bpermute_b32 v5, v5, v1
	v_add_lshl_u32 v3, v6, v3, 2
	v_add_nc_u32_e32 v6, 2, v4
	v_add_nc_u32_e32 v4, 4, v4
	v_cmp_gt_u32_e64 s0, s1, v6
	s_waitcnt lgkmcnt(0)
	v_add_f32_e32 v5, v1, v5
	v_cndmask_b32_e32 v5, v1, v5, vcc_lo
	ds_bpermute_b32 v3, v3, v5
	s_waitcnt lgkmcnt(0)
	v_add_f32_e32 v3, v5, v3
	v_cndmask_b32_e64 v3, v5, v3, s0
	v_cmp_gt_u32_e64 s0, s1, v4
	ds_bpermute_b32 v2, v2, v3
	s_waitcnt lgkmcnt(0)
	v_add_f32_e32 v2, v3, v2
	v_cndmask_b32_e64 v2, v3, v2, s0
	v_cndmask_b32_e32 v1, v1, v2, vcc_lo
.LBB35_324:
	s_or_b32 exec_lo, exec_lo, s2
.LBB35_325:
	v_cmp_eq_u32_e64 s0, 0, v0
	s_branch .LBB35_350
.LBB35_326:
	s_cmp_eq_u32 s38, 8
	s_cbranch_scc0 .LBB35_349
; %bb.327:
	s_lshl_b32 s8, s6, 11
	s_mov_b32 s7, 0
	s_lshr_b64 s[0:1], s[40:41], 11
	s_add_i32 s12, s39, s8
	s_cmp_lg_u64 s[0:1], s[6:7]
	s_cbranch_scc0 .LBB35_351
; %bb.328:
	v_add_nc_u32_e32 v2, s12, v0
	s_movk_i32 s2, 0x2710
	v_lshlrev_b32_e32 v1, 12, v2
	v_add3_u32 v1, v2, v1, 0x7ed55d16
	v_lshrrev_b32_e32 v3, 19, v1
	v_xor3_b32 v1, v1, v3, 0xc761c23c
	v_lshl_add_u32 v1, v1, 5, v1
	v_add_nc_u32_e32 v3, 0xe9f8cc1d, v1
	v_lshl_add_u32 v1, v1, 9, 0xaccf6200
	v_xor_b32_e32 v1, v3, v1
	v_lshlrev_b32_e32 v3, 3, v1
	v_add3_u32 v1, v1, v3, 0xfd7046c5
	v_lshrrev_b32_e32 v3, 16, v1
	v_xor3_b32 v1, v1, v3, 0xb55a4f09
	v_mul_hi_u32 v3, v1, 3
	v_sub_nc_u32_e32 v4, v1, v3
	v_lshrrev_b32_e32 v4, 1, v4
	v_add_nc_u32_e32 v3, v4, v3
	v_lshrrev_b32_e32 v3, 30, v3
	v_mul_lo_u32 v3, 0x7fffffff, v3
	v_sub_nc_u32_e32 v1, v1, v3
	v_max_u32_e32 v3, 1, v1
	v_mov_b32_e32 v1, 0
.LBB35_329:                             ; =>This Inner Loop Header: Depth=1
	v_mul_hi_u32 v4, 0xbc8f1391, v3
	s_add_i32 s2, s2, -2
	s_cmp_lg_u32 s2, 0
	v_lshrrev_b32_e32 v4, 15, v4
	v_mul_u32_u24_e32 v5, 0xadc8, v4
	v_mul_u32_u24_e32 v4, 0xd47, v4
	v_sub_nc_u32_e32 v3, v3, v5
	v_xor_b32_e32 v5, 0x7fffffff, v4
	v_sub_nc_u32_e32 v6, 0, v4
	v_mul_lo_u32 v3, 0xbc8f, v3
	v_cmp_lt_u32_e32 vcc_lo, v3, v4
	v_cndmask_b32_e32 v4, v6, v5, vcc_lo
	v_add_nc_u32_e32 v3, v4, v3
	v_mul_hi_u32 v4, 0xbc8f1391, v3
	v_lshrrev_b32_e32 v4, 15, v4
	v_mul_u32_u24_e32 v5, 0xadc8, v4
	v_mul_u32_u24_e32 v4, 0xd47, v4
	v_sub_nc_u32_e32 v5, v3, v5
	v_xor_b32_e32 v6, 0x7fffffff, v4
	v_sub_nc_u32_e32 v7, 0, v4
	v_add_nc_u32_e32 v3, -1, v3
	v_mul_lo_u32 v5, 0xbc8f, v5
	v_cvt_f32_u32_e32 v3, v3
	v_cmp_lt_u32_e32 vcc_lo, v5, v4
	v_cndmask_b32_e32 v4, v7, v6, vcc_lo
	v_add_nc_u32_e32 v4, v4, v5
	v_mul_hi_u32 v5, 0xbc8f1391, v4
	v_lshrrev_b32_e32 v5, 15, v5
	v_mul_u32_u24_e32 v6, 0xadc8, v5
	v_mul_u32_u24_e32 v5, 0xd47, v5
	v_sub_nc_u32_e32 v6, v4, v6
	v_xor_b32_e32 v7, 0x7fffffff, v5
	v_sub_nc_u32_e32 v8, 0, v5
	v_add_nc_u32_e32 v4, -1, v4
	v_mul_lo_u32 v6, 0xbc8f, v6
	v_cvt_f32_u32_e32 v4, v4
	v_fma_f32 v4, 0x30000000, v4, 0
	v_cmp_lt_u32_e32 vcc_lo, v6, v5
	v_mul_f32_e32 v4, v4, v4
	v_cndmask_b32_e32 v5, v8, v7, vcc_lo
	v_fma_f32 v7, 0x30000000, v3, 0
	v_add_nc_u32_e32 v5, v5, v6
	v_fmac_f32_e32 v4, v7, v7
	v_mul_hi_u32 v6, 0xbc8f1391, v5
	v_mul_f32_e32 v7, 0x4f800000, v4
	v_lshrrev_b32_e32 v3, 15, v6
	v_mul_u32_u24_e32 v6, 0xadc8, v3
	v_mul_u32_u24_e32 v3, 0xd47, v3
	v_sub_nc_u32_e32 v6, v5, v6
	v_xor_b32_e32 v8, 0x7fffffff, v3
	v_sub_nc_u32_e32 v9, 0, v3
	v_add_nc_u32_e32 v5, -1, v5
	v_mul_lo_u32 v6, 0xbc8f, v6
	v_cvt_f32_u32_e32 v5, v5
	v_fma_f32 v5, 0x30000000, v5, 0
	v_cmp_lt_u32_e32 vcc_lo, v6, v3
	v_cndmask_b32_e32 v3, v9, v8, vcc_lo
	v_cmp_gt_f32_e32 vcc_lo, 0xf800000, v4
	v_add_f32_e32 v8, 1.0, v1
	v_add_nc_u32_e32 v3, v3, v6
	v_cndmask_b32_e32 v4, v4, v7, vcc_lo
	v_add_nc_u32_e32 v6, -1, v3
	v_cvt_f32_u32_e32 v6, v6
	v_fma_f32 v6, 0x30000000, v6, 0
	v_mul_f32_e32 v6, v6, v6
	v_fmac_f32_e32 v6, v5, v5
	v_sqrt_f32_e32 v5, v4
	v_mul_f32_e32 v7, 0x4f800000, v6
	v_cmp_gt_f32_e64 s0, 0xf800000, v6
	v_cndmask_b32_e64 v6, v6, v7, s0
	v_add_nc_u32_e32 v7, -1, v5
	v_add_nc_u32_e32 v9, 1, v5
	v_sqrt_f32_e32 v10, v6
	v_fma_f32 v11, -v7, v5, v4
	v_fma_f32 v12, -v9, v5, v4
	v_cmp_ge_f32_e64 s1, 0, v11
	v_cndmask_b32_e64 v5, v5, v7, s1
	v_cmp_lt_f32_e64 s1, 0, v12
	v_add_nc_u32_e32 v7, -1, v10
	v_cndmask_b32_e64 v5, v5, v9, s1
	v_add_nc_u32_e32 v9, 1, v10
	v_fma_f32 v11, -v7, v10, v6
	v_mul_f32_e32 v12, 0x37800000, v5
	v_fma_f32 v13, -v9, v10, v6
	v_cmp_ge_f32_e64 s1, 0, v11
	v_cndmask_b32_e32 v5, v5, v12, vcc_lo
	v_cmp_class_f32_e64 vcc_lo, v4, 0x260
	v_cndmask_b32_e64 v7, v10, v7, s1
	v_cmp_lt_f32_e64 s1, 0, v13
	v_cndmask_b32_e32 v4, v5, v4, vcc_lo
	v_cndmask_b32_e64 v7, v7, v9, s1
	v_cmp_nge_f32_e32 vcc_lo, 1.0, v4
	v_mul_f32_e32 v5, 0x37800000, v7
	v_cndmask_b32_e32 v1, v8, v1, vcc_lo
	v_cmp_class_f32_e64 vcc_lo, v6, 0x260
	v_cndmask_b32_e64 v4, v7, v5, s0
	v_add_f32_e32 v5, 1.0, v1
	v_cndmask_b32_e32 v4, v4, v6, vcc_lo
	v_cmp_nge_f32_e32 vcc_lo, 1.0, v4
	v_cndmask_b32_e32 v1, v5, v1, vcc_lo
	s_cbranch_scc1 .LBB35_329
; %bb.330:
	v_lshl_add_u32 v3, v2, 12, v2
	s_movk_i32 s2, 0x2710
	v_add_nc_u32_e32 v2, 0x7ee55e16, v3
	v_lshrrev_b32_e32 v4, 19, v2
	v_xor3_b32 v2, v2, v4, 0xc761c23c
	v_lshl_add_u32 v2, v2, 5, v2
	v_add_nc_u32_e32 v4, 0xe9f8cc1d, v2
	v_lshl_add_u32 v2, v2, 9, 0xaccf6200
	v_xor_b32_e32 v2, v4, v2
	v_lshlrev_b32_e32 v4, 3, v2
	v_add3_u32 v2, v2, v4, 0xfd7046c5
	v_lshrrev_b32_e32 v4, 16, v2
	v_xor3_b32 v2, v2, v4, 0xb55a4f09
	v_mul_hi_u32 v4, v2, 3
	v_sub_nc_u32_e32 v5, v2, v4
	v_lshrrev_b32_e32 v5, 1, v5
	v_add_nc_u32_e32 v4, v5, v4
	v_lshrrev_b32_e32 v4, 30, v4
	v_mul_lo_u32 v4, 0x7fffffff, v4
	v_sub_nc_u32_e32 v2, v2, v4
	v_max_u32_e32 v4, 1, v2
	v_mov_b32_e32 v2, 0
.LBB35_331:                             ; =>This Inner Loop Header: Depth=1
	v_mul_hi_u32 v5, 0xbc8f1391, v4
	s_add_i32 s2, s2, -2
	s_cmp_lg_u32 s2, 0
	v_lshrrev_b32_e32 v5, 15, v5
	v_mul_u32_u24_e32 v6, 0xadc8, v5
	v_mul_u32_u24_e32 v5, 0xd47, v5
	v_sub_nc_u32_e32 v4, v4, v6
	v_xor_b32_e32 v6, 0x7fffffff, v5
	v_sub_nc_u32_e32 v7, 0, v5
	v_mul_lo_u32 v4, 0xbc8f, v4
	v_cmp_lt_u32_e32 vcc_lo, v4, v5
	v_cndmask_b32_e32 v5, v7, v6, vcc_lo
	v_add_nc_u32_e32 v4, v5, v4
	v_mul_hi_u32 v5, 0xbc8f1391, v4
	v_lshrrev_b32_e32 v5, 15, v5
	v_mul_u32_u24_e32 v6, 0xadc8, v5
	v_mul_u32_u24_e32 v5, 0xd47, v5
	v_sub_nc_u32_e32 v6, v4, v6
	v_xor_b32_e32 v7, 0x7fffffff, v5
	v_sub_nc_u32_e32 v8, 0, v5
	v_add_nc_u32_e32 v4, -1, v4
	v_mul_lo_u32 v6, 0xbc8f, v6
	v_cvt_f32_u32_e32 v4, v4
	v_cmp_lt_u32_e32 vcc_lo, v6, v5
	v_cndmask_b32_e32 v5, v8, v7, vcc_lo
	v_add_nc_u32_e32 v5, v5, v6
	v_mul_hi_u32 v6, 0xbc8f1391, v5
	v_lshrrev_b32_e32 v6, 15, v6
	v_mul_u32_u24_e32 v7, 0xadc8, v6
	v_mul_u32_u24_e32 v6, 0xd47, v6
	v_sub_nc_u32_e32 v7, v5, v7
	v_xor_b32_e32 v8, 0x7fffffff, v6
	v_sub_nc_u32_e32 v9, 0, v6
	v_add_nc_u32_e32 v5, -1, v5
	v_mul_lo_u32 v7, 0xbc8f, v7
	v_cvt_f32_u32_e32 v5, v5
	v_fma_f32 v5, 0x30000000, v5, 0
	v_cmp_lt_u32_e32 vcc_lo, v7, v6
	v_mul_f32_e32 v5, v5, v5
	v_cndmask_b32_e32 v6, v9, v8, vcc_lo
	v_fma_f32 v8, 0x30000000, v4, 0
	v_add_nc_u32_e32 v6, v6, v7
	v_fmac_f32_e32 v5, v8, v8
	v_mul_hi_u32 v7, 0xbc8f1391, v6
	v_mul_f32_e32 v8, 0x4f800000, v5
	v_lshrrev_b32_e32 v4, 15, v7
	v_mul_u32_u24_e32 v7, 0xadc8, v4
	v_mul_u32_u24_e32 v4, 0xd47, v4
	v_sub_nc_u32_e32 v7, v6, v7
	v_xor_b32_e32 v9, 0x7fffffff, v4
	v_sub_nc_u32_e32 v10, 0, v4
	v_add_nc_u32_e32 v6, -1, v6
	v_mul_lo_u32 v7, 0xbc8f, v7
	v_cvt_f32_u32_e32 v6, v6
	v_fma_f32 v6, 0x30000000, v6, 0
	v_cmp_lt_u32_e32 vcc_lo, v7, v4
	v_cndmask_b32_e32 v4, v10, v9, vcc_lo
	v_cmp_gt_f32_e32 vcc_lo, 0xf800000, v5
	v_add_f32_e32 v9, 1.0, v2
	v_add_nc_u32_e32 v4, v4, v7
	v_cndmask_b32_e32 v5, v5, v8, vcc_lo
	v_add_nc_u32_e32 v7, -1, v4
	v_cvt_f32_u32_e32 v7, v7
	v_fma_f32 v7, 0x30000000, v7, 0
	v_mul_f32_e32 v7, v7, v7
	v_fmac_f32_e32 v7, v6, v6
	v_sqrt_f32_e32 v6, v5
	v_mul_f32_e32 v8, 0x4f800000, v7
	v_cmp_gt_f32_e64 s0, 0xf800000, v7
	v_cndmask_b32_e64 v7, v7, v8, s0
	v_add_nc_u32_e32 v8, -1, v6
	v_add_nc_u32_e32 v10, 1, v6
	v_sqrt_f32_e32 v11, v7
	v_fma_f32 v12, -v8, v6, v5
	v_fma_f32 v13, -v10, v6, v5
	v_cmp_ge_f32_e64 s1, 0, v12
	v_cndmask_b32_e64 v6, v6, v8, s1
	v_cmp_lt_f32_e64 s1, 0, v13
	v_add_nc_u32_e32 v8, -1, v11
	v_cndmask_b32_e64 v6, v6, v10, s1
	v_add_nc_u32_e32 v10, 1, v11
	v_fma_f32 v12, -v8, v11, v7
	v_mul_f32_e32 v13, 0x37800000, v6
	v_fma_f32 v14, -v10, v11, v7
	v_cmp_ge_f32_e64 s1, 0, v12
	v_cndmask_b32_e32 v6, v6, v13, vcc_lo
	v_cmp_class_f32_e64 vcc_lo, v5, 0x260
	v_cndmask_b32_e64 v8, v11, v8, s1
	v_cmp_lt_f32_e64 s1, 0, v14
	v_cndmask_b32_e32 v5, v6, v5, vcc_lo
	v_cndmask_b32_e64 v8, v8, v10, s1
	v_cmp_nge_f32_e32 vcc_lo, 1.0, v5
	v_mul_f32_e32 v6, 0x37800000, v8
	v_cndmask_b32_e32 v2, v9, v2, vcc_lo
	v_cmp_class_f32_e64 vcc_lo, v7, 0x260
	v_cndmask_b32_e64 v5, v8, v6, s0
	v_add_f32_e32 v6, 1.0, v2
	v_cndmask_b32_e32 v5, v5, v7, vcc_lo
	v_cmp_nge_f32_e32 vcc_lo, 1.0, v5
	v_cndmask_b32_e32 v2, v6, v2, vcc_lo
	s_cbranch_scc1 .LBB35_331
; %bb.332:
	v_add_nc_u32_e32 v4, 0x7ef55f16, v3
	s_movk_i32 s2, 0x2710
	v_lshrrev_b32_e32 v5, 19, v4
	v_xor3_b32 v4, v4, v5, 0xc761c23c
	v_lshl_add_u32 v4, v4, 5, v4
	v_add_nc_u32_e32 v5, 0xe9f8cc1d, v4
	v_lshl_add_u32 v4, v4, 9, 0xaccf6200
	v_xor_b32_e32 v4, v5, v4
	v_lshlrev_b32_e32 v5, 3, v4
	v_add3_u32 v4, v4, v5, 0xfd7046c5
	v_lshrrev_b32_e32 v5, 16, v4
	v_xor3_b32 v4, v4, v5, 0xb55a4f09
	v_mul_hi_u32 v5, v4, 3
	v_sub_nc_u32_e32 v6, v4, v5
	v_lshrrev_b32_e32 v6, 1, v6
	v_add_nc_u32_e32 v5, v6, v5
	v_lshrrev_b32_e32 v5, 30, v5
	v_mul_lo_u32 v5, 0x7fffffff, v5
	v_sub_nc_u32_e32 v4, v4, v5
	v_max_u32_e32 v5, 1, v4
	v_mov_b32_e32 v4, 0
.LBB35_333:                             ; =>This Inner Loop Header: Depth=1
	v_mul_hi_u32 v6, 0xbc8f1391, v5
	s_add_i32 s2, s2, -2
	s_cmp_lg_u32 s2, 0
	v_lshrrev_b32_e32 v6, 15, v6
	v_mul_u32_u24_e32 v7, 0xadc8, v6
	v_mul_u32_u24_e32 v6, 0xd47, v6
	v_sub_nc_u32_e32 v5, v5, v7
	v_xor_b32_e32 v7, 0x7fffffff, v6
	v_sub_nc_u32_e32 v8, 0, v6
	v_mul_lo_u32 v5, 0xbc8f, v5
	v_cmp_lt_u32_e32 vcc_lo, v5, v6
	v_cndmask_b32_e32 v6, v8, v7, vcc_lo
	v_add_nc_u32_e32 v5, v6, v5
	v_mul_hi_u32 v6, 0xbc8f1391, v5
	v_lshrrev_b32_e32 v6, 15, v6
	v_mul_u32_u24_e32 v7, 0xadc8, v6
	v_mul_u32_u24_e32 v6, 0xd47, v6
	v_sub_nc_u32_e32 v7, v5, v7
	v_xor_b32_e32 v8, 0x7fffffff, v6
	v_sub_nc_u32_e32 v9, 0, v6
	v_add_nc_u32_e32 v5, -1, v5
	v_mul_lo_u32 v7, 0xbc8f, v7
	v_cvt_f32_u32_e32 v5, v5
	v_cmp_lt_u32_e32 vcc_lo, v7, v6
	v_cndmask_b32_e32 v6, v9, v8, vcc_lo
	v_add_nc_u32_e32 v6, v6, v7
	v_mul_hi_u32 v7, 0xbc8f1391, v6
	v_lshrrev_b32_e32 v7, 15, v7
	v_mul_u32_u24_e32 v8, 0xadc8, v7
	v_mul_u32_u24_e32 v7, 0xd47, v7
	v_sub_nc_u32_e32 v8, v6, v8
	v_xor_b32_e32 v9, 0x7fffffff, v7
	v_sub_nc_u32_e32 v10, 0, v7
	v_add_nc_u32_e32 v6, -1, v6
	v_mul_lo_u32 v8, 0xbc8f, v8
	v_cvt_f32_u32_e32 v6, v6
	v_fma_f32 v6, 0x30000000, v6, 0
	v_cmp_lt_u32_e32 vcc_lo, v8, v7
	v_mul_f32_e32 v6, v6, v6
	v_cndmask_b32_e32 v7, v10, v9, vcc_lo
	v_fma_f32 v9, 0x30000000, v5, 0
	v_add_nc_u32_e32 v7, v7, v8
	v_fmac_f32_e32 v6, v9, v9
	v_mul_hi_u32 v8, 0xbc8f1391, v7
	v_mul_f32_e32 v9, 0x4f800000, v6
	v_lshrrev_b32_e32 v5, 15, v8
	v_mul_u32_u24_e32 v8, 0xadc8, v5
	v_mul_u32_u24_e32 v5, 0xd47, v5
	v_sub_nc_u32_e32 v8, v7, v8
	v_xor_b32_e32 v10, 0x7fffffff, v5
	v_sub_nc_u32_e32 v11, 0, v5
	v_add_nc_u32_e32 v7, -1, v7
	v_mul_lo_u32 v8, 0xbc8f, v8
	v_cvt_f32_u32_e32 v7, v7
	v_fma_f32 v7, 0x30000000, v7, 0
	v_cmp_lt_u32_e32 vcc_lo, v8, v5
	v_cndmask_b32_e32 v5, v11, v10, vcc_lo
	v_cmp_gt_f32_e32 vcc_lo, 0xf800000, v6
	v_add_f32_e32 v10, 1.0, v4
	v_add_nc_u32_e32 v5, v5, v8
	v_cndmask_b32_e32 v6, v6, v9, vcc_lo
	v_add_nc_u32_e32 v8, -1, v5
	v_cvt_f32_u32_e32 v8, v8
	v_fma_f32 v8, 0x30000000, v8, 0
	v_mul_f32_e32 v8, v8, v8
	v_fmac_f32_e32 v8, v7, v7
	v_sqrt_f32_e32 v7, v6
	v_mul_f32_e32 v9, 0x4f800000, v8
	v_cmp_gt_f32_e64 s0, 0xf800000, v8
	v_cndmask_b32_e64 v8, v8, v9, s0
	v_add_nc_u32_e32 v9, -1, v7
	v_add_nc_u32_e32 v11, 1, v7
	v_sqrt_f32_e32 v12, v8
	v_fma_f32 v13, -v9, v7, v6
	v_fma_f32 v14, -v11, v7, v6
	v_cmp_ge_f32_e64 s1, 0, v13
	v_cndmask_b32_e64 v7, v7, v9, s1
	v_cmp_lt_f32_e64 s1, 0, v14
	v_add_nc_u32_e32 v9, -1, v12
	v_cndmask_b32_e64 v7, v7, v11, s1
	v_add_nc_u32_e32 v11, 1, v12
	v_fma_f32 v13, -v9, v12, v8
	v_mul_f32_e32 v14, 0x37800000, v7
	v_fma_f32 v15, -v11, v12, v8
	v_cmp_ge_f32_e64 s1, 0, v13
	v_cndmask_b32_e32 v7, v7, v14, vcc_lo
	v_cmp_class_f32_e64 vcc_lo, v6, 0x260
	v_cndmask_b32_e64 v9, v12, v9, s1
	v_cmp_lt_f32_e64 s1, 0, v15
	v_cndmask_b32_e32 v6, v7, v6, vcc_lo
	v_cndmask_b32_e64 v9, v9, v11, s1
	v_cmp_nge_f32_e32 vcc_lo, 1.0, v6
	v_mul_f32_e32 v7, 0x37800000, v9
	v_cndmask_b32_e32 v4, v10, v4, vcc_lo
	v_cmp_class_f32_e64 vcc_lo, v8, 0x260
	v_cndmask_b32_e64 v6, v9, v7, s0
	v_add_f32_e32 v7, 1.0, v4
	v_cndmask_b32_e32 v6, v6, v8, vcc_lo
	v_cmp_nge_f32_e32 vcc_lo, 1.0, v6
	v_cndmask_b32_e32 v4, v7, v4, vcc_lo
	s_cbranch_scc1 .LBB35_333
; %bb.334:
	v_add_nc_u32_e32 v5, 0x7f056016, v3
	s_movk_i32 s2, 0x2710
	v_lshrrev_b32_e32 v6, 19, v5
	v_xor3_b32 v5, v5, v6, 0xc761c23c
	v_lshl_add_u32 v5, v5, 5, v5
	v_add_nc_u32_e32 v6, 0xe9f8cc1d, v5
	v_lshl_add_u32 v5, v5, 9, 0xaccf6200
	v_xor_b32_e32 v5, v6, v5
	v_lshlrev_b32_e32 v6, 3, v5
	v_add3_u32 v5, v5, v6, 0xfd7046c5
	v_lshrrev_b32_e32 v6, 16, v5
	v_xor3_b32 v5, v5, v6, 0xb55a4f09
	v_mul_hi_u32 v6, v5, 3
	v_sub_nc_u32_e32 v7, v5, v6
	v_lshrrev_b32_e32 v7, 1, v7
	v_add_nc_u32_e32 v6, v7, v6
	v_lshrrev_b32_e32 v6, 30, v6
	v_mul_lo_u32 v6, 0x7fffffff, v6
	v_sub_nc_u32_e32 v5, v5, v6
	v_max_u32_e32 v6, 1, v5
	v_mov_b32_e32 v5, 0
.LBB35_335:                             ; =>This Inner Loop Header: Depth=1
	v_mul_hi_u32 v7, 0xbc8f1391, v6
	s_add_i32 s2, s2, -2
	s_cmp_lg_u32 s2, 0
	v_lshrrev_b32_e32 v7, 15, v7
	v_mul_u32_u24_e32 v8, 0xadc8, v7
	v_mul_u32_u24_e32 v7, 0xd47, v7
	v_sub_nc_u32_e32 v6, v6, v8
	v_xor_b32_e32 v8, 0x7fffffff, v7
	v_sub_nc_u32_e32 v9, 0, v7
	v_mul_lo_u32 v6, 0xbc8f, v6
	v_cmp_lt_u32_e32 vcc_lo, v6, v7
	v_cndmask_b32_e32 v7, v9, v8, vcc_lo
	v_add_nc_u32_e32 v6, v7, v6
	v_mul_hi_u32 v7, 0xbc8f1391, v6
	v_lshrrev_b32_e32 v7, 15, v7
	v_mul_u32_u24_e32 v8, 0xadc8, v7
	v_mul_u32_u24_e32 v7, 0xd47, v7
	v_sub_nc_u32_e32 v8, v6, v8
	v_xor_b32_e32 v9, 0x7fffffff, v7
	v_sub_nc_u32_e32 v10, 0, v7
	v_add_nc_u32_e32 v6, -1, v6
	v_mul_lo_u32 v8, 0xbc8f, v8
	v_cvt_f32_u32_e32 v6, v6
	v_cmp_lt_u32_e32 vcc_lo, v8, v7
	v_cndmask_b32_e32 v7, v10, v9, vcc_lo
	v_add_nc_u32_e32 v7, v7, v8
	v_mul_hi_u32 v8, 0xbc8f1391, v7
	v_lshrrev_b32_e32 v8, 15, v8
	v_mul_u32_u24_e32 v9, 0xadc8, v8
	v_mul_u32_u24_e32 v8, 0xd47, v8
	v_sub_nc_u32_e32 v9, v7, v9
	v_xor_b32_e32 v10, 0x7fffffff, v8
	v_sub_nc_u32_e32 v11, 0, v8
	v_add_nc_u32_e32 v7, -1, v7
	v_mul_lo_u32 v9, 0xbc8f, v9
	v_cvt_f32_u32_e32 v7, v7
	v_fma_f32 v7, 0x30000000, v7, 0
	v_cmp_lt_u32_e32 vcc_lo, v9, v8
	v_mul_f32_e32 v7, v7, v7
	v_cndmask_b32_e32 v8, v11, v10, vcc_lo
	v_fma_f32 v10, 0x30000000, v6, 0
	v_add_nc_u32_e32 v8, v8, v9
	v_fmac_f32_e32 v7, v10, v10
	v_mul_hi_u32 v9, 0xbc8f1391, v8
	v_mul_f32_e32 v10, 0x4f800000, v7
	v_lshrrev_b32_e32 v6, 15, v9
	v_mul_u32_u24_e32 v9, 0xadc8, v6
	v_mul_u32_u24_e32 v6, 0xd47, v6
	v_sub_nc_u32_e32 v9, v8, v9
	v_xor_b32_e32 v11, 0x7fffffff, v6
	v_sub_nc_u32_e32 v12, 0, v6
	v_add_nc_u32_e32 v8, -1, v8
	v_mul_lo_u32 v9, 0xbc8f, v9
	v_cvt_f32_u32_e32 v8, v8
	v_fma_f32 v8, 0x30000000, v8, 0
	v_cmp_lt_u32_e32 vcc_lo, v9, v6
	v_cndmask_b32_e32 v6, v12, v11, vcc_lo
	v_cmp_gt_f32_e32 vcc_lo, 0xf800000, v7
	v_add_f32_e32 v11, 1.0, v5
	v_add_nc_u32_e32 v6, v6, v9
	v_cndmask_b32_e32 v7, v7, v10, vcc_lo
	v_add_nc_u32_e32 v9, -1, v6
	v_cvt_f32_u32_e32 v9, v9
	v_fma_f32 v9, 0x30000000, v9, 0
	v_mul_f32_e32 v9, v9, v9
	v_fmac_f32_e32 v9, v8, v8
	v_sqrt_f32_e32 v8, v7
	v_mul_f32_e32 v10, 0x4f800000, v9
	v_cmp_gt_f32_e64 s0, 0xf800000, v9
	v_cndmask_b32_e64 v9, v9, v10, s0
	v_add_nc_u32_e32 v10, -1, v8
	v_add_nc_u32_e32 v12, 1, v8
	v_sqrt_f32_e32 v13, v9
	v_fma_f32 v14, -v10, v8, v7
	v_fma_f32 v15, -v12, v8, v7
	v_cmp_ge_f32_e64 s1, 0, v14
	v_cndmask_b32_e64 v8, v8, v10, s1
	v_cmp_lt_f32_e64 s1, 0, v15
	v_add_nc_u32_e32 v10, -1, v13
	v_cndmask_b32_e64 v8, v8, v12, s1
	v_add_nc_u32_e32 v12, 1, v13
	v_fma_f32 v14, -v10, v13, v9
	v_mul_f32_e32 v15, 0x37800000, v8
	v_fma_f32 v16, -v12, v13, v9
	v_cmp_ge_f32_e64 s1, 0, v14
	v_cndmask_b32_e32 v8, v8, v15, vcc_lo
	v_cmp_class_f32_e64 vcc_lo, v7, 0x260
	v_cndmask_b32_e64 v10, v13, v10, s1
	v_cmp_lt_f32_e64 s1, 0, v16
	v_cndmask_b32_e32 v7, v8, v7, vcc_lo
	v_cndmask_b32_e64 v10, v10, v12, s1
	v_cmp_nge_f32_e32 vcc_lo, 1.0, v7
	v_mul_f32_e32 v8, 0x37800000, v10
	v_cndmask_b32_e32 v5, v11, v5, vcc_lo
	v_cmp_class_f32_e64 vcc_lo, v9, 0x260
	v_cndmask_b32_e64 v7, v10, v8, s0
	v_add_f32_e32 v8, 1.0, v5
	v_cndmask_b32_e32 v7, v7, v9, vcc_lo
	v_cmp_nge_f32_e32 vcc_lo, 1.0, v7
	v_cndmask_b32_e32 v5, v8, v5, vcc_lo
	s_cbranch_scc1 .LBB35_335
; %bb.336:
	v_add_nc_u32_e32 v6, 0x7f156116, v3
	s_movk_i32 s2, 0x2710
	v_lshrrev_b32_e32 v7, 19, v6
	v_xor3_b32 v6, v6, v7, 0xc761c23c
	v_lshl_add_u32 v6, v6, 5, v6
	v_add_nc_u32_e32 v7, 0xe9f8cc1d, v6
	v_lshl_add_u32 v6, v6, 9, 0xaccf6200
	v_xor_b32_e32 v6, v7, v6
	v_lshlrev_b32_e32 v7, 3, v6
	v_add3_u32 v6, v6, v7, 0xfd7046c5
	v_lshrrev_b32_e32 v7, 16, v6
	v_xor3_b32 v6, v6, v7, 0xb55a4f09
	v_mul_hi_u32 v7, v6, 3
	v_sub_nc_u32_e32 v8, v6, v7
	v_lshrrev_b32_e32 v8, 1, v8
	v_add_nc_u32_e32 v7, v8, v7
	v_lshrrev_b32_e32 v7, 30, v7
	v_mul_lo_u32 v7, 0x7fffffff, v7
	v_sub_nc_u32_e32 v6, v6, v7
	v_max_u32_e32 v7, 1, v6
	v_mov_b32_e32 v6, 0
.LBB35_337:                             ; =>This Inner Loop Header: Depth=1
	v_mul_hi_u32 v8, 0xbc8f1391, v7
	s_add_i32 s2, s2, -2
	s_cmp_lg_u32 s2, 0
	v_lshrrev_b32_e32 v8, 15, v8
	v_mul_u32_u24_e32 v9, 0xadc8, v8
	v_mul_u32_u24_e32 v8, 0xd47, v8
	v_sub_nc_u32_e32 v7, v7, v9
	v_xor_b32_e32 v9, 0x7fffffff, v8
	v_sub_nc_u32_e32 v10, 0, v8
	v_mul_lo_u32 v7, 0xbc8f, v7
	v_cmp_lt_u32_e32 vcc_lo, v7, v8
	v_cndmask_b32_e32 v8, v10, v9, vcc_lo
	v_add_nc_u32_e32 v7, v8, v7
	v_mul_hi_u32 v8, 0xbc8f1391, v7
	v_lshrrev_b32_e32 v8, 15, v8
	v_mul_u32_u24_e32 v9, 0xadc8, v8
	v_mul_u32_u24_e32 v8, 0xd47, v8
	v_sub_nc_u32_e32 v9, v7, v9
	v_xor_b32_e32 v10, 0x7fffffff, v8
	v_sub_nc_u32_e32 v11, 0, v8
	v_add_nc_u32_e32 v7, -1, v7
	v_mul_lo_u32 v9, 0xbc8f, v9
	v_cvt_f32_u32_e32 v7, v7
	v_cmp_lt_u32_e32 vcc_lo, v9, v8
	v_cndmask_b32_e32 v8, v11, v10, vcc_lo
	v_add_nc_u32_e32 v8, v8, v9
	v_mul_hi_u32 v9, 0xbc8f1391, v8
	v_lshrrev_b32_e32 v9, 15, v9
	v_mul_u32_u24_e32 v10, 0xadc8, v9
	v_mul_u32_u24_e32 v9, 0xd47, v9
	v_sub_nc_u32_e32 v10, v8, v10
	v_xor_b32_e32 v11, 0x7fffffff, v9
	v_sub_nc_u32_e32 v12, 0, v9
	v_add_nc_u32_e32 v8, -1, v8
	v_mul_lo_u32 v10, 0xbc8f, v10
	v_cvt_f32_u32_e32 v8, v8
	v_fma_f32 v8, 0x30000000, v8, 0
	v_cmp_lt_u32_e32 vcc_lo, v10, v9
	v_mul_f32_e32 v8, v8, v8
	v_cndmask_b32_e32 v9, v12, v11, vcc_lo
	v_fma_f32 v11, 0x30000000, v7, 0
	v_add_nc_u32_e32 v9, v9, v10
	v_fmac_f32_e32 v8, v11, v11
	v_mul_hi_u32 v10, 0xbc8f1391, v9
	v_mul_f32_e32 v11, 0x4f800000, v8
	v_lshrrev_b32_e32 v7, 15, v10
	v_mul_u32_u24_e32 v10, 0xadc8, v7
	v_mul_u32_u24_e32 v7, 0xd47, v7
	v_sub_nc_u32_e32 v10, v9, v10
	v_xor_b32_e32 v12, 0x7fffffff, v7
	v_sub_nc_u32_e32 v13, 0, v7
	v_add_nc_u32_e32 v9, -1, v9
	v_mul_lo_u32 v10, 0xbc8f, v10
	v_cvt_f32_u32_e32 v9, v9
	v_fma_f32 v9, 0x30000000, v9, 0
	v_cmp_lt_u32_e32 vcc_lo, v10, v7
	v_cndmask_b32_e32 v7, v13, v12, vcc_lo
	v_cmp_gt_f32_e32 vcc_lo, 0xf800000, v8
	v_add_f32_e32 v12, 1.0, v6
	v_add_nc_u32_e32 v7, v7, v10
	v_cndmask_b32_e32 v8, v8, v11, vcc_lo
	v_add_nc_u32_e32 v10, -1, v7
	v_cvt_f32_u32_e32 v10, v10
	v_fma_f32 v10, 0x30000000, v10, 0
	v_mul_f32_e32 v10, v10, v10
	v_fmac_f32_e32 v10, v9, v9
	v_sqrt_f32_e32 v9, v8
	v_mul_f32_e32 v11, 0x4f800000, v10
	v_cmp_gt_f32_e64 s0, 0xf800000, v10
	v_cndmask_b32_e64 v10, v10, v11, s0
	v_add_nc_u32_e32 v11, -1, v9
	v_add_nc_u32_e32 v13, 1, v9
	v_sqrt_f32_e32 v14, v10
	v_fma_f32 v15, -v11, v9, v8
	v_fma_f32 v16, -v13, v9, v8
	v_cmp_ge_f32_e64 s1, 0, v15
	v_cndmask_b32_e64 v9, v9, v11, s1
	v_cmp_lt_f32_e64 s1, 0, v16
	v_add_nc_u32_e32 v11, -1, v14
	v_cndmask_b32_e64 v9, v9, v13, s1
	v_add_nc_u32_e32 v13, 1, v14
	v_fma_f32 v15, -v11, v14, v10
	v_mul_f32_e32 v16, 0x37800000, v9
	v_fma_f32 v17, -v13, v14, v10
	v_cmp_ge_f32_e64 s1, 0, v15
	v_cndmask_b32_e32 v9, v9, v16, vcc_lo
	v_cmp_class_f32_e64 vcc_lo, v8, 0x260
	v_cndmask_b32_e64 v11, v14, v11, s1
	v_cmp_lt_f32_e64 s1, 0, v17
	v_cndmask_b32_e32 v8, v9, v8, vcc_lo
	v_cndmask_b32_e64 v11, v11, v13, s1
	v_cmp_nge_f32_e32 vcc_lo, 1.0, v8
	v_mul_f32_e32 v9, 0x37800000, v11
	v_cndmask_b32_e32 v6, v12, v6, vcc_lo
	v_cmp_class_f32_e64 vcc_lo, v10, 0x260
	v_cndmask_b32_e64 v8, v11, v9, s0
	v_add_f32_e32 v9, 1.0, v6
	v_cndmask_b32_e32 v8, v8, v10, vcc_lo
	v_cmp_nge_f32_e32 vcc_lo, 1.0, v8
	v_cndmask_b32_e32 v6, v9, v6, vcc_lo
	s_cbranch_scc1 .LBB35_337
; %bb.338:
	v_add_nc_u32_e32 v7, 0x7f256216, v3
	s_movk_i32 s2, 0x2710
	v_lshrrev_b32_e32 v8, 19, v7
	v_xor3_b32 v7, v7, v8, 0xc761c23c
	v_lshl_add_u32 v7, v7, 5, v7
	v_add_nc_u32_e32 v8, 0xe9f8cc1d, v7
	v_lshl_add_u32 v7, v7, 9, 0xaccf6200
	v_xor_b32_e32 v7, v8, v7
	v_lshlrev_b32_e32 v8, 3, v7
	v_add3_u32 v7, v7, v8, 0xfd7046c5
	v_lshrrev_b32_e32 v8, 16, v7
	v_xor3_b32 v7, v7, v8, 0xb55a4f09
	v_mul_hi_u32 v8, v7, 3
	v_sub_nc_u32_e32 v9, v7, v8
	v_lshrrev_b32_e32 v9, 1, v9
	v_add_nc_u32_e32 v8, v9, v8
	v_lshrrev_b32_e32 v8, 30, v8
	v_mul_lo_u32 v8, 0x7fffffff, v8
	v_sub_nc_u32_e32 v7, v7, v8
	v_max_u32_e32 v8, 1, v7
	v_mov_b32_e32 v7, 0
.LBB35_339:                             ; =>This Inner Loop Header: Depth=1
	v_mul_hi_u32 v9, 0xbc8f1391, v8
	s_add_i32 s2, s2, -2
	s_cmp_lg_u32 s2, 0
	v_lshrrev_b32_e32 v9, 15, v9
	v_mul_u32_u24_e32 v10, 0xadc8, v9
	v_mul_u32_u24_e32 v9, 0xd47, v9
	v_sub_nc_u32_e32 v8, v8, v10
	v_xor_b32_e32 v10, 0x7fffffff, v9
	v_sub_nc_u32_e32 v11, 0, v9
	v_mul_lo_u32 v8, 0xbc8f, v8
	v_cmp_lt_u32_e32 vcc_lo, v8, v9
	v_cndmask_b32_e32 v9, v11, v10, vcc_lo
	v_add_nc_u32_e32 v8, v9, v8
	v_mul_hi_u32 v9, 0xbc8f1391, v8
	v_lshrrev_b32_e32 v9, 15, v9
	v_mul_u32_u24_e32 v10, 0xadc8, v9
	v_mul_u32_u24_e32 v9, 0xd47, v9
	v_sub_nc_u32_e32 v10, v8, v10
	v_xor_b32_e32 v11, 0x7fffffff, v9
	v_sub_nc_u32_e32 v12, 0, v9
	v_add_nc_u32_e32 v8, -1, v8
	v_mul_lo_u32 v10, 0xbc8f, v10
	v_cvt_f32_u32_e32 v8, v8
	v_cmp_lt_u32_e32 vcc_lo, v10, v9
	v_cndmask_b32_e32 v9, v12, v11, vcc_lo
	v_add_nc_u32_e32 v9, v9, v10
	v_mul_hi_u32 v10, 0xbc8f1391, v9
	v_lshrrev_b32_e32 v10, 15, v10
	v_mul_u32_u24_e32 v11, 0xadc8, v10
	v_mul_u32_u24_e32 v10, 0xd47, v10
	v_sub_nc_u32_e32 v11, v9, v11
	v_xor_b32_e32 v12, 0x7fffffff, v10
	v_sub_nc_u32_e32 v13, 0, v10
	v_add_nc_u32_e32 v9, -1, v9
	v_mul_lo_u32 v11, 0xbc8f, v11
	v_cvt_f32_u32_e32 v9, v9
	v_fma_f32 v9, 0x30000000, v9, 0
	v_cmp_lt_u32_e32 vcc_lo, v11, v10
	v_mul_f32_e32 v9, v9, v9
	v_cndmask_b32_e32 v10, v13, v12, vcc_lo
	v_fma_f32 v12, 0x30000000, v8, 0
	v_add_nc_u32_e32 v10, v10, v11
	v_fmac_f32_e32 v9, v12, v12
	v_mul_hi_u32 v11, 0xbc8f1391, v10
	v_mul_f32_e32 v12, 0x4f800000, v9
	v_lshrrev_b32_e32 v8, 15, v11
	v_mul_u32_u24_e32 v11, 0xadc8, v8
	v_mul_u32_u24_e32 v8, 0xd47, v8
	v_sub_nc_u32_e32 v11, v10, v11
	v_xor_b32_e32 v13, 0x7fffffff, v8
	v_sub_nc_u32_e32 v14, 0, v8
	v_add_nc_u32_e32 v10, -1, v10
	v_mul_lo_u32 v11, 0xbc8f, v11
	v_cvt_f32_u32_e32 v10, v10
	v_fma_f32 v10, 0x30000000, v10, 0
	v_cmp_lt_u32_e32 vcc_lo, v11, v8
	v_cndmask_b32_e32 v8, v14, v13, vcc_lo
	v_cmp_gt_f32_e32 vcc_lo, 0xf800000, v9
	v_add_f32_e32 v13, 1.0, v7
	v_add_nc_u32_e32 v8, v8, v11
	v_cndmask_b32_e32 v9, v9, v12, vcc_lo
	v_add_nc_u32_e32 v11, -1, v8
	v_cvt_f32_u32_e32 v11, v11
	v_fma_f32 v11, 0x30000000, v11, 0
	v_mul_f32_e32 v11, v11, v11
	v_fmac_f32_e32 v11, v10, v10
	v_sqrt_f32_e32 v10, v9
	v_mul_f32_e32 v12, 0x4f800000, v11
	v_cmp_gt_f32_e64 s0, 0xf800000, v11
	v_cndmask_b32_e64 v11, v11, v12, s0
	v_add_nc_u32_e32 v12, -1, v10
	v_add_nc_u32_e32 v14, 1, v10
	v_sqrt_f32_e32 v15, v11
	v_fma_f32 v16, -v12, v10, v9
	v_fma_f32 v17, -v14, v10, v9
	v_cmp_ge_f32_e64 s1, 0, v16
	v_cndmask_b32_e64 v10, v10, v12, s1
	v_cmp_lt_f32_e64 s1, 0, v17
	v_add_nc_u32_e32 v12, -1, v15
	v_cndmask_b32_e64 v10, v10, v14, s1
	v_add_nc_u32_e32 v14, 1, v15
	v_fma_f32 v16, -v12, v15, v11
	v_mul_f32_e32 v17, 0x37800000, v10
	v_fma_f32 v18, -v14, v15, v11
	v_cmp_ge_f32_e64 s1, 0, v16
	v_cndmask_b32_e32 v10, v10, v17, vcc_lo
	v_cmp_class_f32_e64 vcc_lo, v9, 0x260
	v_cndmask_b32_e64 v12, v15, v12, s1
	v_cmp_lt_f32_e64 s1, 0, v18
	v_cndmask_b32_e32 v9, v10, v9, vcc_lo
	v_cndmask_b32_e64 v12, v12, v14, s1
	v_cmp_nge_f32_e32 vcc_lo, 1.0, v9
	v_mul_f32_e32 v10, 0x37800000, v12
	v_cndmask_b32_e32 v7, v13, v7, vcc_lo
	v_cmp_class_f32_e64 vcc_lo, v11, 0x260
	v_cndmask_b32_e64 v9, v12, v10, s0
	v_add_f32_e32 v10, 1.0, v7
	v_cndmask_b32_e32 v9, v9, v11, vcc_lo
	v_cmp_nge_f32_e32 vcc_lo, 1.0, v9
	v_cndmask_b32_e32 v7, v10, v7, vcc_lo
	s_cbranch_scc1 .LBB35_339
; %bb.340:
	v_add_nc_u32_e32 v8, 0x7f356316, v3
	s_movk_i32 s2, 0x2710
	v_lshrrev_b32_e32 v9, 19, v8
	v_xor3_b32 v8, v8, v9, 0xc761c23c
	v_lshl_add_u32 v8, v8, 5, v8
	v_add_nc_u32_e32 v9, 0xe9f8cc1d, v8
	v_lshl_add_u32 v8, v8, 9, 0xaccf6200
	v_xor_b32_e32 v8, v9, v8
	v_lshlrev_b32_e32 v9, 3, v8
	v_add3_u32 v8, v8, v9, 0xfd7046c5
	v_lshrrev_b32_e32 v9, 16, v8
	v_xor3_b32 v8, v8, v9, 0xb55a4f09
	v_mul_hi_u32 v9, v8, 3
	v_sub_nc_u32_e32 v10, v8, v9
	v_lshrrev_b32_e32 v10, 1, v10
	v_add_nc_u32_e32 v9, v10, v9
	v_lshrrev_b32_e32 v9, 30, v9
	v_mul_lo_u32 v9, 0x7fffffff, v9
	v_sub_nc_u32_e32 v8, v8, v9
	v_max_u32_e32 v9, 1, v8
	v_mov_b32_e32 v8, 0
.LBB35_341:                             ; =>This Inner Loop Header: Depth=1
	v_mul_hi_u32 v10, 0xbc8f1391, v9
	s_add_i32 s2, s2, -2
	s_cmp_lg_u32 s2, 0
	v_lshrrev_b32_e32 v10, 15, v10
	v_mul_u32_u24_e32 v11, 0xadc8, v10
	v_mul_u32_u24_e32 v10, 0xd47, v10
	v_sub_nc_u32_e32 v9, v9, v11
	v_xor_b32_e32 v11, 0x7fffffff, v10
	v_sub_nc_u32_e32 v12, 0, v10
	v_mul_lo_u32 v9, 0xbc8f, v9
	v_cmp_lt_u32_e32 vcc_lo, v9, v10
	v_cndmask_b32_e32 v10, v12, v11, vcc_lo
	v_add_nc_u32_e32 v9, v10, v9
	v_mul_hi_u32 v10, 0xbc8f1391, v9
	v_lshrrev_b32_e32 v10, 15, v10
	v_mul_u32_u24_e32 v11, 0xadc8, v10
	v_mul_u32_u24_e32 v10, 0xd47, v10
	v_sub_nc_u32_e32 v11, v9, v11
	v_xor_b32_e32 v12, 0x7fffffff, v10
	v_sub_nc_u32_e32 v13, 0, v10
	v_add_nc_u32_e32 v9, -1, v9
	v_mul_lo_u32 v11, 0xbc8f, v11
	v_cvt_f32_u32_e32 v9, v9
	v_cmp_lt_u32_e32 vcc_lo, v11, v10
	v_cndmask_b32_e32 v10, v13, v12, vcc_lo
	v_add_nc_u32_e32 v10, v10, v11
	v_mul_hi_u32 v11, 0xbc8f1391, v10
	v_lshrrev_b32_e32 v11, 15, v11
	v_mul_u32_u24_e32 v12, 0xadc8, v11
	v_mul_u32_u24_e32 v11, 0xd47, v11
	v_sub_nc_u32_e32 v12, v10, v12
	v_xor_b32_e32 v13, 0x7fffffff, v11
	v_sub_nc_u32_e32 v14, 0, v11
	v_add_nc_u32_e32 v10, -1, v10
	v_mul_lo_u32 v12, 0xbc8f, v12
	v_cvt_f32_u32_e32 v10, v10
	v_fma_f32 v10, 0x30000000, v10, 0
	v_cmp_lt_u32_e32 vcc_lo, v12, v11
	v_mul_f32_e32 v10, v10, v10
	v_cndmask_b32_e32 v11, v14, v13, vcc_lo
	v_fma_f32 v13, 0x30000000, v9, 0
	v_add_nc_u32_e32 v11, v11, v12
	v_fmac_f32_e32 v10, v13, v13
	v_mul_hi_u32 v12, 0xbc8f1391, v11
	v_mul_f32_e32 v13, 0x4f800000, v10
	v_lshrrev_b32_e32 v9, 15, v12
	v_mul_u32_u24_e32 v12, 0xadc8, v9
	v_mul_u32_u24_e32 v9, 0xd47, v9
	v_sub_nc_u32_e32 v12, v11, v12
	v_xor_b32_e32 v14, 0x7fffffff, v9
	v_sub_nc_u32_e32 v15, 0, v9
	v_add_nc_u32_e32 v11, -1, v11
	v_mul_lo_u32 v12, 0xbc8f, v12
	v_cvt_f32_u32_e32 v11, v11
	v_fma_f32 v11, 0x30000000, v11, 0
	v_cmp_lt_u32_e32 vcc_lo, v12, v9
	v_cndmask_b32_e32 v9, v15, v14, vcc_lo
	v_cmp_gt_f32_e32 vcc_lo, 0xf800000, v10
	v_add_f32_e32 v14, 1.0, v8
	v_add_nc_u32_e32 v9, v9, v12
	v_cndmask_b32_e32 v10, v10, v13, vcc_lo
	v_add_nc_u32_e32 v12, -1, v9
	v_cvt_f32_u32_e32 v12, v12
	v_fma_f32 v12, 0x30000000, v12, 0
	v_mul_f32_e32 v12, v12, v12
	v_fmac_f32_e32 v12, v11, v11
	v_sqrt_f32_e32 v11, v10
	v_mul_f32_e32 v13, 0x4f800000, v12
	v_cmp_gt_f32_e64 s0, 0xf800000, v12
	v_cndmask_b32_e64 v12, v12, v13, s0
	v_add_nc_u32_e32 v13, -1, v11
	v_add_nc_u32_e32 v15, 1, v11
	v_sqrt_f32_e32 v16, v12
	v_fma_f32 v17, -v13, v11, v10
	v_fma_f32 v18, -v15, v11, v10
	v_cmp_ge_f32_e64 s1, 0, v17
	v_cndmask_b32_e64 v11, v11, v13, s1
	v_cmp_lt_f32_e64 s1, 0, v18
	v_add_nc_u32_e32 v13, -1, v16
	v_cndmask_b32_e64 v11, v11, v15, s1
	v_add_nc_u32_e32 v15, 1, v16
	v_fma_f32 v17, -v13, v16, v12
	v_mul_f32_e32 v18, 0x37800000, v11
	v_fma_f32 v19, -v15, v16, v12
	v_cmp_ge_f32_e64 s1, 0, v17
	v_cndmask_b32_e32 v11, v11, v18, vcc_lo
	v_cmp_class_f32_e64 vcc_lo, v10, 0x260
	v_cndmask_b32_e64 v13, v16, v13, s1
	v_cmp_lt_f32_e64 s1, 0, v19
	v_cndmask_b32_e32 v10, v11, v10, vcc_lo
	v_cndmask_b32_e64 v13, v13, v15, s1
	v_cmp_nge_f32_e32 vcc_lo, 1.0, v10
	v_mul_f32_e32 v11, 0x37800000, v13
	v_cndmask_b32_e32 v8, v14, v8, vcc_lo
	v_cmp_class_f32_e64 vcc_lo, v12, 0x260
	v_cndmask_b32_e64 v10, v13, v11, s0
	v_add_f32_e32 v11, 1.0, v8
	v_cndmask_b32_e32 v10, v10, v12, vcc_lo
	v_cmp_nge_f32_e32 vcc_lo, 1.0, v10
	v_cndmask_b32_e32 v8, v11, v8, vcc_lo
	s_cbranch_scc1 .LBB35_341
; %bb.342:
	v_add_nc_u32_e32 v3, 0x7f456416, v3
	s_movk_i32 s2, 0x2710
	v_lshrrev_b32_e32 v9, 19, v3
	v_xor3_b32 v3, v3, v9, 0xc761c23c
	v_lshl_add_u32 v3, v3, 5, v3
	v_add_nc_u32_e32 v9, 0xe9f8cc1d, v3
	v_lshl_add_u32 v3, v3, 9, 0xaccf6200
	v_xor_b32_e32 v3, v9, v3
	v_lshlrev_b32_e32 v9, 3, v3
	v_add3_u32 v3, v3, v9, 0xfd7046c5
	v_lshrrev_b32_e32 v9, 16, v3
	v_xor3_b32 v3, v3, v9, 0xb55a4f09
	v_mul_hi_u32 v9, v3, 3
	v_sub_nc_u32_e32 v10, v3, v9
	v_lshrrev_b32_e32 v10, 1, v10
	v_add_nc_u32_e32 v9, v10, v9
	v_lshrrev_b32_e32 v9, 30, v9
	v_mul_lo_u32 v9, 0x7fffffff, v9
	v_sub_nc_u32_e32 v3, v3, v9
	v_max_u32_e32 v9, 1, v3
	v_mov_b32_e32 v3, 0
.LBB35_343:                             ; =>This Inner Loop Header: Depth=1
	v_mul_hi_u32 v10, 0xbc8f1391, v9
	s_add_i32 s2, s2, -2
	s_cmp_lg_u32 s2, 0
	v_lshrrev_b32_e32 v10, 15, v10
	v_mul_u32_u24_e32 v11, 0xadc8, v10
	v_mul_u32_u24_e32 v10, 0xd47, v10
	v_sub_nc_u32_e32 v9, v9, v11
	v_xor_b32_e32 v11, 0x7fffffff, v10
	v_sub_nc_u32_e32 v12, 0, v10
	v_mul_lo_u32 v9, 0xbc8f, v9
	v_cmp_lt_u32_e32 vcc_lo, v9, v10
	v_cndmask_b32_e32 v10, v12, v11, vcc_lo
	v_add_nc_u32_e32 v9, v10, v9
	v_mul_hi_u32 v10, 0xbc8f1391, v9
	v_lshrrev_b32_e32 v10, 15, v10
	v_mul_u32_u24_e32 v11, 0xadc8, v10
	v_mul_u32_u24_e32 v10, 0xd47, v10
	v_sub_nc_u32_e32 v11, v9, v11
	v_xor_b32_e32 v12, 0x7fffffff, v10
	v_sub_nc_u32_e32 v13, 0, v10
	v_add_nc_u32_e32 v9, -1, v9
	v_mul_lo_u32 v11, 0xbc8f, v11
	v_cvt_f32_u32_e32 v9, v9
	v_cmp_lt_u32_e32 vcc_lo, v11, v10
	v_cndmask_b32_e32 v10, v13, v12, vcc_lo
	v_add_nc_u32_e32 v10, v10, v11
	v_mul_hi_u32 v11, 0xbc8f1391, v10
	v_lshrrev_b32_e32 v11, 15, v11
	v_mul_u32_u24_e32 v12, 0xadc8, v11
	v_mul_u32_u24_e32 v11, 0xd47, v11
	v_sub_nc_u32_e32 v12, v10, v12
	v_xor_b32_e32 v13, 0x7fffffff, v11
	v_sub_nc_u32_e32 v14, 0, v11
	v_add_nc_u32_e32 v10, -1, v10
	v_mul_lo_u32 v12, 0xbc8f, v12
	v_cvt_f32_u32_e32 v10, v10
	v_fma_f32 v10, 0x30000000, v10, 0
	v_cmp_lt_u32_e32 vcc_lo, v12, v11
	v_mul_f32_e32 v10, v10, v10
	v_cndmask_b32_e32 v11, v14, v13, vcc_lo
	v_fma_f32 v13, 0x30000000, v9, 0
	v_add_nc_u32_e32 v11, v11, v12
	v_fmac_f32_e32 v10, v13, v13
	v_mul_hi_u32 v12, 0xbc8f1391, v11
	v_mul_f32_e32 v13, 0x4f800000, v10
	v_lshrrev_b32_e32 v9, 15, v12
	v_mul_u32_u24_e32 v12, 0xadc8, v9
	v_mul_u32_u24_e32 v9, 0xd47, v9
	v_sub_nc_u32_e32 v12, v11, v12
	v_xor_b32_e32 v14, 0x7fffffff, v9
	v_sub_nc_u32_e32 v15, 0, v9
	v_add_nc_u32_e32 v11, -1, v11
	v_mul_lo_u32 v12, 0xbc8f, v12
	v_cvt_f32_u32_e32 v11, v11
	v_fma_f32 v11, 0x30000000, v11, 0
	v_cmp_lt_u32_e32 vcc_lo, v12, v9
	v_cndmask_b32_e32 v9, v15, v14, vcc_lo
	v_cmp_gt_f32_e32 vcc_lo, 0xf800000, v10
	v_add_f32_e32 v14, 1.0, v3
	v_add_nc_u32_e32 v9, v9, v12
	v_cndmask_b32_e32 v10, v10, v13, vcc_lo
	v_add_nc_u32_e32 v12, -1, v9
	v_cvt_f32_u32_e32 v12, v12
	v_fma_f32 v12, 0x30000000, v12, 0
	v_mul_f32_e32 v12, v12, v12
	v_fmac_f32_e32 v12, v11, v11
	v_sqrt_f32_e32 v11, v10
	v_mul_f32_e32 v13, 0x4f800000, v12
	v_cmp_gt_f32_e64 s0, 0xf800000, v12
	v_cndmask_b32_e64 v12, v12, v13, s0
	v_add_nc_u32_e32 v13, -1, v11
	v_add_nc_u32_e32 v15, 1, v11
	v_sqrt_f32_e32 v16, v12
	v_fma_f32 v17, -v13, v11, v10
	v_fma_f32 v18, -v15, v11, v10
	v_cmp_ge_f32_e64 s1, 0, v17
	v_cndmask_b32_e64 v11, v11, v13, s1
	v_cmp_lt_f32_e64 s1, 0, v18
	v_add_nc_u32_e32 v13, -1, v16
	v_cndmask_b32_e64 v11, v11, v15, s1
	v_add_nc_u32_e32 v15, 1, v16
	v_fma_f32 v17, -v13, v16, v12
	v_mul_f32_e32 v18, 0x37800000, v11
	v_fma_f32 v19, -v15, v16, v12
	v_cmp_ge_f32_e64 s1, 0, v17
	v_cndmask_b32_e32 v11, v11, v18, vcc_lo
	v_cmp_class_f32_e64 vcc_lo, v10, 0x260
	v_cndmask_b32_e64 v13, v16, v13, s1
	v_cmp_lt_f32_e64 s1, 0, v19
	v_cndmask_b32_e32 v10, v11, v10, vcc_lo
	v_cndmask_b32_e64 v13, v13, v15, s1
	v_cmp_nge_f32_e32 vcc_lo, 1.0, v10
	v_mul_f32_e32 v11, 0x37800000, v13
	v_cndmask_b32_e32 v3, v14, v3, vcc_lo
	v_cmp_class_f32_e64 vcc_lo, v12, 0x260
	v_cndmask_b32_e64 v10, v13, v11, s0
	v_add_f32_e32 v11, 1.0, v3
	v_cndmask_b32_e32 v10, v10, v12, vcc_lo
	v_cmp_nge_f32_e32 vcc_lo, 1.0, v10
	v_cndmask_b32_e32 v3, v11, v3, vcc_lo
	s_cbranch_scc1 .LBB35_343
; %bb.344:
	v_mul_f32_e32 v1, 4.0, v1
	v_mul_f32_e32 v2, 4.0, v2
	v_mul_f32_e32 v4, 4.0, v4
	v_mul_f32_e32 v5, 4.0, v5
	v_mul_f32_e32 v6, 4.0, v6
	v_div_scale_f32 v9, null, 0x461c4000, 0x461c4000, v1
	v_div_scale_f32 v10, null, 0x461c4000, 0x461c4000, v2
	;; [unrolled: 1-line block ×3, first 2 shown]
	v_rcp_f32_e32 v12, v9
	v_rcp_f32_e32 v13, v10
	v_div_scale_f32 v15, vcc_lo, v1, 0x461c4000, v1
	v_rcp_f32_e32 v14, v11
	v_div_scale_f32 v16, s0, v2, 0x461c4000, v2
	v_div_scale_f32 v19, null, 0x461c4000, 0x461c4000, v5
	v_div_scale_f32 v26, null, 0x461c4000, 0x461c4000, v6
	v_fma_f32 v17, -v9, v12, 1.0
	v_fma_f32 v18, -v10, v13, 1.0
	v_div_scale_f32 v22, s2, v5, 0x461c4000, v5
	v_fma_f32 v20, -v11, v14, 1.0
	v_fmac_f32_e32 v12, v17, v12
	v_fmac_f32_e32 v13, v18, v13
	v_div_scale_f32 v17, s1, v4, 0x461c4000, v4
	v_fmac_f32_e32 v14, v20, v14
	v_mul_f32_e32 v20, v15, v12
	v_rcp_f32_e32 v18, v19
	v_mul_f32_e32 v21, v16, v13
	v_mul_f32_e32 v7, 4.0, v7
	v_mul_f32_e32 v23, v17, v14
	v_fma_f32 v24, -v9, v20, v15
	v_mul_f32_e32 v8, 4.0, v8
	v_fma_f32 v25, -v10, v21, v16
	v_mul_f32_e32 v3, 4.0, v3
	v_fmac_f32_e32 v20, v24, v12
	v_fma_f32 v27, -v19, v18, 1.0
	v_fma_f32 v24, -v11, v23, v17
	v_fmac_f32_e32 v21, v25, v13
	v_rcp_f32_e32 v25, v26
	v_fma_f32 v9, -v9, v20, v15
	v_fmac_f32_e32 v18, v27, v18
	v_fmac_f32_e32 v23, v24, v14
	v_fma_f32 v10, -v10, v21, v16
	v_div_scale_f32 v15, null, 0x461c4000, 0x461c4000, v8
	v_div_fmas_f32 v9, v9, v12, v20
	s_mov_b32 vcc_lo, s0
	v_fma_f32 v11, -v11, v23, v17
	v_div_fmas_f32 v10, v10, v13, v21
	v_mul_f32_e32 v13, v22, v18
	s_mov_b32 vcc_lo, s1
	v_fma_f32 v12, -v26, v25, 1.0
	v_div_fixup_f32 v1, v9, 0x461c4000, v1
	v_div_fixup_f32 v2, v10, 0x461c4000, v2
	v_div_scale_f32 v9, null, 0x461c4000, 0x461c4000, v7
	v_div_fmas_f32 v10, v11, v14, v23
	v_fma_f32 v11, -v19, v13, v22
	v_fmac_f32_e32 v25, v12, v25
	v_rcp_f32_e32 v12, v9
	v_div_scale_f32 v14, s0, v6, 0x461c4000, v6
	v_fmac_f32_e32 v13, v11, v18
	v_rcp_f32_e32 v11, v15
	v_div_fixup_f32 v4, v10, 0x461c4000, v4
	v_mul_f32_e32 v10, v14, v25
	s_mov_b32 vcc_lo, s2
	v_fma_f32 v17, -v19, v13, v22
	v_div_scale_f32 v19, null, 0x461c4000, 0x461c4000, v3
	v_fma_f32 v16, -v9, v12, 1.0
	v_fma_f32 v20, -v26, v10, v14
	v_div_fmas_f32 v13, v17, v18, v13
	v_rcp_f32_e32 v21, v19
	v_fma_f32 v22, -v15, v11, 1.0
	v_fmac_f32_e32 v12, v16, v12
	v_div_scale_f32 v16, s1, v7, 0x461c4000, v7
	v_fmac_f32_e32 v10, v20, v25
	v_fmac_f32_e32 v11, v22, v11
	v_div_scale_f32 v18, s2, v8, 0x461c4000, v8
	v_mul_f32_e32 v17, v16, v12
	v_fma_f32 v20, -v19, v21, 1.0
	v_div_fixup_f32 v5, v13, 0x461c4000, v5
	v_fma_f32 v13, -v26, v10, v14
	v_mul_f32_e32 v22, v18, v11
	v_fma_f32 v14, -v9, v17, v16
	v_fmac_f32_e32 v21, v20, v21
	v_div_scale_f32 v20, s3, v3, 0x461c4000, v3
	s_mov_b32 vcc_lo, s0
	v_fmac_f32_e32 v17, v14, v12
	v_div_fmas_f32 v10, v13, v25, v10
	v_fma_f32 v13, -v15, v22, v18
	v_mul_f32_e32 v14, v20, v21
	v_add_f32_e32 v1, v1, v2
	s_mov_b32 vcc_lo, s1
	v_div_fixup_f32 v2, v10, 0x461c4000, v6
	v_fma_f32 v6, -v9, v17, v16
	v_fmac_f32_e32 v22, v13, v11
	v_fma_f32 v9, -v19, v14, v20
	v_add_f32_e32 v1, v1, v4
	s_mov_b32 s0, exec_lo
	v_div_fmas_f32 v4, v6, v12, v17
	v_fma_f32 v6, -v15, v22, v18
	v_fmac_f32_e32 v14, v9, v21
	v_add_f32_e32 v1, v1, v5
	s_mov_b32 vcc_lo, s2
	v_div_fixup_f32 v4, v4, 0x461c4000, v7
	v_div_fmas_f32 v5, v6, v11, v22
	v_fma_f32 v6, -v19, v14, v20
	v_add_f32_e32 v1, v1, v2
	s_mov_b32 vcc_lo, s3
	v_div_fixup_f32 v2, v5, 0x461c4000, v8
	v_div_fmas_f32 v5, v6, v21, v14
	v_add_f32_e32 v1, v1, v4
	v_div_fixup_f32 v3, v5, 0x461c4000, v3
	v_add_f32_e32 v1, v1, v2
	v_add_f32_e32 v1, v1, v3
	v_mov_b32_dpp v2, v1 quad_perm:[1,0,3,2] row_mask:0xf bank_mask:0xf
	v_add_f32_e32 v1, v1, v2
	v_mov_b32_dpp v2, v1 quad_perm:[2,3,0,1] row_mask:0xf bank_mask:0xf
	v_add_f32_e32 v1, v1, v2
	v_mov_b32_dpp v2, v1 row_ror:4 row_mask:0xf bank_mask:0xf
	v_add_f32_e32 v1, v1, v2
	v_mov_b32_dpp v2, v1 row_ror:8 row_mask:0xf bank_mask:0xf
	v_add_f32_e32 v1, v1, v2
	ds_swizzle_b32 v2, v1 offset:swizzle(BROADCAST,32,15)
	s_waitcnt lgkmcnt(0)
	v_add_f32_e32 v1, v1, v2
	v_mov_b32_e32 v2, 0
	ds_bpermute_b32 v1, v2, v1 offset:124
	v_mbcnt_lo_u32_b32 v2, -1, 0
	v_cmpx_eq_u32_e32 0, v2
	s_cbranch_execz .LBB35_346
; %bb.345:
	v_lshrrev_b32_e32 v3, 3, v0
	v_and_b32_e32 v3, 28, v3
	s_waitcnt lgkmcnt(0)
	ds_write_b32 v3, v1 offset:160
.LBB35_346:
	s_or_b32 exec_lo, exec_lo, s0
	s_mov_b32 s0, exec_lo
	s_waitcnt lgkmcnt(0)
	s_barrier
	buffer_gl0_inv
	v_cmpx_gt_u32_e32 32, v0
	s_cbranch_execz .LBB35_348
; %bb.347:
	v_and_b32_e32 v1, 7, v2
	v_lshlrev_b32_e32 v3, 2, v1
	v_cmp_ne_u32_e32 vcc_lo, 7, v1
	ds_read_b32 v3, v3 offset:160
	v_add_co_ci_u32_e64 v4, null, 0, v2, vcc_lo
	v_cmp_gt_u32_e32 vcc_lo, 6, v1
	v_lshlrev_b32_e32 v4, 2, v4
	v_cndmask_b32_e64 v1, 0, 2, vcc_lo
	v_add_lshl_u32 v1, v1, v2, 2
	v_lshlrev_b32_e32 v2, 2, v2
	v_or_b32_e32 v2, 16, v2
	s_waitcnt lgkmcnt(0)
	ds_bpermute_b32 v4, v4, v3
	s_waitcnt lgkmcnt(0)
	v_add_f32_e32 v3, v3, v4
	ds_bpermute_b32 v1, v1, v3
	s_waitcnt lgkmcnt(0)
	v_add_f32_e32 v1, v3, v1
	;; [unrolled: 3-line block ×3, first 2 shown]
.LBB35_348:
	s_or_b32 exec_lo, exec_lo, s0
	s_branch .LBB35_389
.LBB35_349:
                                        ; implicit-def: $vgpr1
.LBB35_350:
	s_branch .LBB35_474
.LBB35_351:
                                        ; implicit-def: $vgpr1
	s_cbranch_execz .LBB35_389
; %bb.352:
	v_mov_b32_e32 v1, 0
	s_sub_i32 s13, s40, s8
	s_mov_b32 s2, exec_lo
	v_mov_b32_e32 v3, v1
	v_mov_b32_e32 v4, v1
	;; [unrolled: 1-line block ×7, first 2 shown]
	v_cmpx_gt_u32_e64 s13, v0
	s_cbranch_execz .LBB35_356
; %bb.353:
	v_add_nc_u32_e32 v2, s12, v0
	s_movk_i32 s3, 0x2710
	v_lshlrev_b32_e32 v3, 12, v2
	v_add3_u32 v2, v2, v3, 0x7ed55d16
	v_lshrrev_b32_e32 v3, 19, v2
	v_xor3_b32 v2, v2, v3, 0xc761c23c
	v_lshl_add_u32 v2, v2, 5, v2
	v_add_nc_u32_e32 v3, 0xe9f8cc1d, v2
	v_lshl_add_u32 v2, v2, 9, 0xaccf6200
	v_xor_b32_e32 v2, v3, v2
	v_lshlrev_b32_e32 v3, 3, v2
	v_add3_u32 v2, v2, v3, 0xfd7046c5
	v_lshrrev_b32_e32 v3, 16, v2
	v_xor3_b32 v2, v2, v3, 0xb55a4f09
	v_mul_hi_u32 v3, v2, 3
	v_sub_nc_u32_e32 v4, v2, v3
	v_lshrrev_b32_e32 v4, 1, v4
	v_add_nc_u32_e32 v3, v4, v3
	v_lshrrev_b32_e32 v3, 30, v3
	v_mul_lo_u32 v3, 0x7fffffff, v3
	v_sub_nc_u32_e32 v2, v2, v3
	v_max_u32_e32 v2, 1, v2
.LBB35_354:                             ; =>This Inner Loop Header: Depth=1
	v_mul_hi_u32 v3, 0xbc8f1391, v2
	s_add_i32 s3, s3, -2
	s_cmp_lg_u32 s3, 0
	v_lshrrev_b32_e32 v3, 15, v3
	v_mul_u32_u24_e32 v4, 0xadc8, v3
	v_mul_u32_u24_e32 v3, 0xd47, v3
	v_sub_nc_u32_e32 v2, v2, v4
	v_xor_b32_e32 v4, 0x7fffffff, v3
	v_sub_nc_u32_e32 v5, 0, v3
	v_mul_lo_u32 v2, 0xbc8f, v2
	v_cmp_lt_u32_e32 vcc_lo, v2, v3
	v_cndmask_b32_e32 v3, v5, v4, vcc_lo
	v_add_nc_u32_e32 v2, v3, v2
	v_mul_hi_u32 v3, 0xbc8f1391, v2
	v_lshrrev_b32_e32 v3, 15, v3
	v_mul_u32_u24_e32 v4, 0xadc8, v3
	v_mul_u32_u24_e32 v3, 0xd47, v3
	v_sub_nc_u32_e32 v4, v2, v4
	v_xor_b32_e32 v5, 0x7fffffff, v3
	v_sub_nc_u32_e32 v6, 0, v3
	v_add_nc_u32_e32 v2, -1, v2
	v_mul_lo_u32 v4, 0xbc8f, v4
	v_cvt_f32_u32_e32 v2, v2
	v_cmp_lt_u32_e32 vcc_lo, v4, v3
	v_cndmask_b32_e32 v3, v6, v5, vcc_lo
	v_add_nc_u32_e32 v3, v3, v4
	v_mul_hi_u32 v4, 0xbc8f1391, v3
	v_lshrrev_b32_e32 v4, 15, v4
	v_mul_u32_u24_e32 v5, 0xadc8, v4
	v_mul_u32_u24_e32 v4, 0xd47, v4
	v_sub_nc_u32_e32 v5, v3, v5
	v_xor_b32_e32 v6, 0x7fffffff, v4
	v_sub_nc_u32_e32 v7, 0, v4
	v_add_nc_u32_e32 v3, -1, v3
	v_mul_lo_u32 v5, 0xbc8f, v5
	v_cvt_f32_u32_e32 v3, v3
	v_fma_f32 v3, 0x30000000, v3, 0
	v_cmp_lt_u32_e32 vcc_lo, v5, v4
	v_mul_f32_e32 v3, v3, v3
	v_cndmask_b32_e32 v4, v7, v6, vcc_lo
	v_fma_f32 v6, 0x30000000, v2, 0
	v_add_nc_u32_e32 v4, v4, v5
	v_fmac_f32_e32 v3, v6, v6
	v_mul_hi_u32 v5, 0xbc8f1391, v4
	v_mul_f32_e32 v6, 0x4f800000, v3
	v_lshrrev_b32_e32 v2, 15, v5
	v_mul_u32_u24_e32 v5, 0xadc8, v2
	v_mul_u32_u24_e32 v2, 0xd47, v2
	v_sub_nc_u32_e32 v5, v4, v5
	v_xor_b32_e32 v7, 0x7fffffff, v2
	v_sub_nc_u32_e32 v8, 0, v2
	v_add_nc_u32_e32 v4, -1, v4
	v_mul_lo_u32 v5, 0xbc8f, v5
	v_cvt_f32_u32_e32 v4, v4
	v_fma_f32 v4, 0x30000000, v4, 0
	v_cmp_lt_u32_e32 vcc_lo, v5, v2
	v_cndmask_b32_e32 v2, v8, v7, vcc_lo
	v_cmp_gt_f32_e32 vcc_lo, 0xf800000, v3
	v_add_f32_e32 v7, 1.0, v1
	v_add_nc_u32_e32 v2, v2, v5
	v_cndmask_b32_e32 v3, v3, v6, vcc_lo
	v_add_nc_u32_e32 v5, -1, v2
	v_cvt_f32_u32_e32 v5, v5
	v_fma_f32 v5, 0x30000000, v5, 0
	v_mul_f32_e32 v5, v5, v5
	v_fmac_f32_e32 v5, v4, v4
	v_sqrt_f32_e32 v4, v3
	v_mul_f32_e32 v6, 0x4f800000, v5
	v_cmp_gt_f32_e64 s0, 0xf800000, v5
	v_cndmask_b32_e64 v5, v5, v6, s0
	v_add_nc_u32_e32 v6, -1, v4
	v_add_nc_u32_e32 v8, 1, v4
	v_sqrt_f32_e32 v9, v5
	v_fma_f32 v10, -v6, v4, v3
	v_fma_f32 v11, -v8, v4, v3
	v_cmp_ge_f32_e64 s1, 0, v10
	v_cndmask_b32_e64 v4, v4, v6, s1
	v_cmp_lt_f32_e64 s1, 0, v11
	v_add_nc_u32_e32 v6, -1, v9
	v_cndmask_b32_e64 v4, v4, v8, s1
	v_add_nc_u32_e32 v8, 1, v9
	v_fma_f32 v10, -v6, v9, v5
	v_mul_f32_e32 v11, 0x37800000, v4
	v_fma_f32 v12, -v8, v9, v5
	v_cmp_ge_f32_e64 s1, 0, v10
	v_cndmask_b32_e32 v4, v4, v11, vcc_lo
	v_cmp_class_f32_e64 vcc_lo, v3, 0x260
	v_cndmask_b32_e64 v6, v9, v6, s1
	v_cmp_lt_f32_e64 s1, 0, v12
	v_cndmask_b32_e32 v3, v4, v3, vcc_lo
	v_cndmask_b32_e64 v6, v6, v8, s1
	v_cmp_nge_f32_e32 vcc_lo, 1.0, v3
	v_mul_f32_e32 v4, 0x37800000, v6
	v_cndmask_b32_e32 v1, v7, v1, vcc_lo
	v_cmp_class_f32_e64 vcc_lo, v5, 0x260
	v_cndmask_b32_e64 v3, v6, v4, s0
	v_add_f32_e32 v4, 1.0, v1
	v_cndmask_b32_e32 v3, v3, v5, vcc_lo
	v_cmp_nge_f32_e32 vcc_lo, 1.0, v3
	v_cndmask_b32_e32 v1, v4, v1, vcc_lo
	s_cbranch_scc1 .LBB35_354
; %bb.355:
	v_mul_f32_e32 v1, 4.0, v1
	v_div_scale_f32 v2, null, 0x461c4000, 0x461c4000, v1
	v_div_scale_f32 v4, vcc_lo, v1, 0x461c4000, v1
	v_rcp_f32_e32 v5, v2
	v_fma_f32 v3, -v2, v5, 1.0
	v_fmac_f32_e32 v5, v3, v5
	v_mul_f32_e32 v6, v4, v5
	v_fma_f32 v3, -v2, v6, v4
	v_fmac_f32_e32 v6, v3, v5
	v_mov_b32_e32 v3, 0
	v_fma_f32 v2, -v2, v6, v4
	v_mov_b32_e32 v4, v3
	v_mov_b32_e32 v7, v3
	;; [unrolled: 1-line block ×3, first 2 shown]
	v_div_fmas_f32 v2, v2, v5, v6
	v_mov_b32_e32 v5, v3
	v_mov_b32_e32 v6, v3
	v_div_fixup_f32 v1, v2, 0x461c4000, v1
	v_mov_b32_e32 v2, v3
.LBB35_356:
	s_or_b32 exec_lo, exec_lo, s2
	v_or_b32_e32 v9, 0x100, v0
	v_cmp_gt_u32_e64 s0, s13, v9
	s_and_saveexec_b32 s3, s0
	s_cbranch_execz .LBB35_360
; %bb.357:
	v_add_nc_u32_e32 v3, s12, v9
	s_movk_i32 s8, 0x2710
	v_lshlrev_b32_e32 v9, 12, v3
	v_add3_u32 v3, v3, v9, 0x7ed55d16
	v_lshrrev_b32_e32 v9, 19, v3
	v_xor3_b32 v3, v3, v9, 0xc761c23c
	v_lshl_add_u32 v3, v3, 5, v3
	v_add_nc_u32_e32 v9, 0xe9f8cc1d, v3
	v_lshl_add_u32 v3, v3, 9, 0xaccf6200
	v_xor_b32_e32 v3, v9, v3
	v_lshlrev_b32_e32 v9, 3, v3
	v_add3_u32 v3, v3, v9, 0xfd7046c5
	v_lshrrev_b32_e32 v9, 16, v3
	v_xor3_b32 v3, v3, v9, 0xb55a4f09
	v_mul_hi_u32 v9, v3, 3
	v_sub_nc_u32_e32 v10, v3, v9
	v_lshrrev_b32_e32 v10, 1, v10
	v_add_nc_u32_e32 v9, v10, v9
	v_lshrrev_b32_e32 v9, 30, v9
	v_mul_lo_u32 v9, 0x7fffffff, v9
	v_sub_nc_u32_e32 v3, v3, v9
	v_max_u32_e32 v9, 1, v3
	v_mov_b32_e32 v3, 0
.LBB35_358:                             ; =>This Inner Loop Header: Depth=1
	v_mul_hi_u32 v10, 0xbc8f1391, v9
	s_add_i32 s8, s8, -2
	s_cmp_lg_u32 s8, 0
	v_lshrrev_b32_e32 v10, 15, v10
	v_mul_u32_u24_e32 v11, 0xadc8, v10
	v_mul_u32_u24_e32 v10, 0xd47, v10
	v_sub_nc_u32_e32 v9, v9, v11
	v_xor_b32_e32 v11, 0x7fffffff, v10
	v_sub_nc_u32_e32 v12, 0, v10
	v_mul_lo_u32 v9, 0xbc8f, v9
	v_cmp_lt_u32_e32 vcc_lo, v9, v10
	v_cndmask_b32_e32 v10, v12, v11, vcc_lo
	v_add_nc_u32_e32 v9, v10, v9
	v_mul_hi_u32 v10, 0xbc8f1391, v9
	v_lshrrev_b32_e32 v10, 15, v10
	v_mul_u32_u24_e32 v11, 0xadc8, v10
	v_mul_u32_u24_e32 v10, 0xd47, v10
	v_sub_nc_u32_e32 v11, v9, v11
	v_xor_b32_e32 v12, 0x7fffffff, v10
	v_sub_nc_u32_e32 v13, 0, v10
	v_add_nc_u32_e32 v9, -1, v9
	v_mul_lo_u32 v11, 0xbc8f, v11
	v_cvt_f32_u32_e32 v9, v9
	v_cmp_lt_u32_e32 vcc_lo, v11, v10
	v_cndmask_b32_e32 v10, v13, v12, vcc_lo
	v_add_nc_u32_e32 v10, v10, v11
	v_mul_hi_u32 v11, 0xbc8f1391, v10
	v_lshrrev_b32_e32 v11, 15, v11
	v_mul_u32_u24_e32 v12, 0xadc8, v11
	v_mul_u32_u24_e32 v11, 0xd47, v11
	v_sub_nc_u32_e32 v12, v10, v12
	v_xor_b32_e32 v13, 0x7fffffff, v11
	v_sub_nc_u32_e32 v14, 0, v11
	v_add_nc_u32_e32 v10, -1, v10
	v_mul_lo_u32 v12, 0xbc8f, v12
	v_cvt_f32_u32_e32 v10, v10
	v_fma_f32 v10, 0x30000000, v10, 0
	v_cmp_lt_u32_e32 vcc_lo, v12, v11
	v_mul_f32_e32 v10, v10, v10
	v_cndmask_b32_e32 v11, v14, v13, vcc_lo
	v_fma_f32 v13, 0x30000000, v9, 0
	v_add_nc_u32_e32 v11, v11, v12
	v_fmac_f32_e32 v10, v13, v13
	v_mul_hi_u32 v12, 0xbc8f1391, v11
	v_mul_f32_e32 v13, 0x4f800000, v10
	v_lshrrev_b32_e32 v9, 15, v12
	v_mul_u32_u24_e32 v12, 0xadc8, v9
	v_mul_u32_u24_e32 v9, 0xd47, v9
	v_sub_nc_u32_e32 v12, v11, v12
	v_xor_b32_e32 v14, 0x7fffffff, v9
	v_sub_nc_u32_e32 v15, 0, v9
	v_add_nc_u32_e32 v11, -1, v11
	v_mul_lo_u32 v12, 0xbc8f, v12
	v_cvt_f32_u32_e32 v11, v11
	v_fma_f32 v11, 0x30000000, v11, 0
	v_cmp_lt_u32_e32 vcc_lo, v12, v9
	v_cndmask_b32_e32 v9, v15, v14, vcc_lo
	v_cmp_gt_f32_e32 vcc_lo, 0xf800000, v10
	v_add_f32_e32 v14, 1.0, v3
	v_add_nc_u32_e32 v9, v9, v12
	v_cndmask_b32_e32 v10, v10, v13, vcc_lo
	v_add_nc_u32_e32 v12, -1, v9
	v_cvt_f32_u32_e32 v12, v12
	v_fma_f32 v12, 0x30000000, v12, 0
	v_mul_f32_e32 v12, v12, v12
	v_fmac_f32_e32 v12, v11, v11
	v_sqrt_f32_e32 v11, v10
	v_mul_f32_e32 v13, 0x4f800000, v12
	v_cmp_gt_f32_e64 s1, 0xf800000, v12
	v_cndmask_b32_e64 v12, v12, v13, s1
	v_add_nc_u32_e32 v13, -1, v11
	v_add_nc_u32_e32 v15, 1, v11
	v_sqrt_f32_e32 v16, v12
	v_fma_f32 v17, -v13, v11, v10
	v_fma_f32 v18, -v15, v11, v10
	v_cmp_ge_f32_e64 s2, 0, v17
	v_cndmask_b32_e64 v11, v11, v13, s2
	v_cmp_lt_f32_e64 s2, 0, v18
	v_add_nc_u32_e32 v13, -1, v16
	v_cndmask_b32_e64 v11, v11, v15, s2
	v_add_nc_u32_e32 v15, 1, v16
	v_fma_f32 v17, -v13, v16, v12
	v_mul_f32_e32 v18, 0x37800000, v11
	v_fma_f32 v19, -v15, v16, v12
	v_cmp_ge_f32_e64 s2, 0, v17
	v_cndmask_b32_e32 v11, v11, v18, vcc_lo
	v_cmp_class_f32_e64 vcc_lo, v10, 0x260
	v_cndmask_b32_e64 v13, v16, v13, s2
	v_cmp_lt_f32_e64 s2, 0, v19
	v_cndmask_b32_e32 v10, v11, v10, vcc_lo
	v_cndmask_b32_e64 v13, v13, v15, s2
	v_cmp_nge_f32_e32 vcc_lo, 1.0, v10
	v_mul_f32_e32 v11, 0x37800000, v13
	v_cndmask_b32_e32 v3, v14, v3, vcc_lo
	v_cmp_class_f32_e64 vcc_lo, v12, 0x260
	v_cndmask_b32_e64 v10, v13, v11, s1
	v_add_f32_e32 v11, 1.0, v3
	v_cndmask_b32_e32 v10, v10, v12, vcc_lo
	v_cmp_nge_f32_e32 vcc_lo, 1.0, v10
	v_cndmask_b32_e32 v3, v11, v3, vcc_lo
	s_cbranch_scc1 .LBB35_358
; %bb.359:
	v_mul_f32_e32 v3, 4.0, v3
	v_div_scale_f32 v9, null, 0x461c4000, 0x461c4000, v3
	v_rcp_f32_e32 v10, v9
	v_fma_f32 v11, -v9, v10, 1.0
	v_fmac_f32_e32 v10, v11, v10
	v_div_scale_f32 v11, vcc_lo, v3, 0x461c4000, v3
	v_mul_f32_e32 v12, v11, v10
	v_fma_f32 v13, -v9, v12, v11
	v_fmac_f32_e32 v12, v13, v10
	v_fma_f32 v9, -v9, v12, v11
	v_div_fmas_f32 v9, v9, v10, v12
	v_div_fixup_f32 v3, v9, 0x461c4000, v3
.LBB35_360:
	s_or_b32 exec_lo, exec_lo, s3
	v_or_b32_e32 v9, 0x200, v0
	v_cmp_gt_u32_e64 s1, s13, v9
	s_and_saveexec_b32 s8, s1
	s_cbranch_execz .LBB35_364
; %bb.361:
	v_add_nc_u32_e32 v4, s12, v9
	s_movk_i32 s9, 0x2710
	v_lshlrev_b32_e32 v9, 12, v4
	v_add3_u32 v4, v4, v9, 0x7ed55d16
	v_lshrrev_b32_e32 v9, 19, v4
	v_xor3_b32 v4, v4, v9, 0xc761c23c
	v_lshl_add_u32 v4, v4, 5, v4
	v_add_nc_u32_e32 v9, 0xe9f8cc1d, v4
	v_lshl_add_u32 v4, v4, 9, 0xaccf6200
	v_xor_b32_e32 v4, v9, v4
	v_lshlrev_b32_e32 v9, 3, v4
	v_add3_u32 v4, v4, v9, 0xfd7046c5
	v_lshrrev_b32_e32 v9, 16, v4
	v_xor3_b32 v4, v4, v9, 0xb55a4f09
	v_mul_hi_u32 v9, v4, 3
	v_sub_nc_u32_e32 v10, v4, v9
	v_lshrrev_b32_e32 v10, 1, v10
	v_add_nc_u32_e32 v9, v10, v9
	v_lshrrev_b32_e32 v9, 30, v9
	v_mul_lo_u32 v9, 0x7fffffff, v9
	v_sub_nc_u32_e32 v4, v4, v9
	v_max_u32_e32 v9, 1, v4
	v_mov_b32_e32 v4, 0
.LBB35_362:                             ; =>This Inner Loop Header: Depth=1
	v_mul_hi_u32 v10, 0xbc8f1391, v9
	s_add_i32 s9, s9, -2
	s_cmp_lg_u32 s9, 0
	v_lshrrev_b32_e32 v10, 15, v10
	v_mul_u32_u24_e32 v11, 0xadc8, v10
	v_mul_u32_u24_e32 v10, 0xd47, v10
	v_sub_nc_u32_e32 v9, v9, v11
	v_xor_b32_e32 v11, 0x7fffffff, v10
	v_sub_nc_u32_e32 v12, 0, v10
	v_mul_lo_u32 v9, 0xbc8f, v9
	v_cmp_lt_u32_e32 vcc_lo, v9, v10
	v_cndmask_b32_e32 v10, v12, v11, vcc_lo
	v_add_nc_u32_e32 v9, v10, v9
	v_mul_hi_u32 v10, 0xbc8f1391, v9
	v_lshrrev_b32_e32 v10, 15, v10
	v_mul_u32_u24_e32 v11, 0xadc8, v10
	v_mul_u32_u24_e32 v10, 0xd47, v10
	v_sub_nc_u32_e32 v11, v9, v11
	v_xor_b32_e32 v12, 0x7fffffff, v10
	v_sub_nc_u32_e32 v13, 0, v10
	v_add_nc_u32_e32 v9, -1, v9
	v_mul_lo_u32 v11, 0xbc8f, v11
	v_cvt_f32_u32_e32 v9, v9
	v_cmp_lt_u32_e32 vcc_lo, v11, v10
	v_cndmask_b32_e32 v10, v13, v12, vcc_lo
	v_add_nc_u32_e32 v10, v10, v11
	v_mul_hi_u32 v11, 0xbc8f1391, v10
	v_lshrrev_b32_e32 v11, 15, v11
	v_mul_u32_u24_e32 v12, 0xadc8, v11
	v_mul_u32_u24_e32 v11, 0xd47, v11
	v_sub_nc_u32_e32 v12, v10, v12
	v_xor_b32_e32 v13, 0x7fffffff, v11
	v_sub_nc_u32_e32 v14, 0, v11
	v_add_nc_u32_e32 v10, -1, v10
	v_mul_lo_u32 v12, 0xbc8f, v12
	v_cvt_f32_u32_e32 v10, v10
	v_fma_f32 v10, 0x30000000, v10, 0
	v_cmp_lt_u32_e32 vcc_lo, v12, v11
	v_mul_f32_e32 v10, v10, v10
	v_cndmask_b32_e32 v11, v14, v13, vcc_lo
	v_fma_f32 v13, 0x30000000, v9, 0
	v_add_nc_u32_e32 v11, v11, v12
	v_fmac_f32_e32 v10, v13, v13
	v_mul_hi_u32 v12, 0xbc8f1391, v11
	v_mul_f32_e32 v13, 0x4f800000, v10
	v_lshrrev_b32_e32 v9, 15, v12
	v_mul_u32_u24_e32 v12, 0xadc8, v9
	v_mul_u32_u24_e32 v9, 0xd47, v9
	v_sub_nc_u32_e32 v12, v11, v12
	v_xor_b32_e32 v14, 0x7fffffff, v9
	v_sub_nc_u32_e32 v15, 0, v9
	v_add_nc_u32_e32 v11, -1, v11
	v_mul_lo_u32 v12, 0xbc8f, v12
	v_cvt_f32_u32_e32 v11, v11
	v_fma_f32 v11, 0x30000000, v11, 0
	v_cmp_lt_u32_e32 vcc_lo, v12, v9
	v_cndmask_b32_e32 v9, v15, v14, vcc_lo
	v_cmp_gt_f32_e32 vcc_lo, 0xf800000, v10
	v_add_f32_e32 v14, 1.0, v4
	v_add_nc_u32_e32 v9, v9, v12
	v_cndmask_b32_e32 v10, v10, v13, vcc_lo
	v_add_nc_u32_e32 v12, -1, v9
	v_cvt_f32_u32_e32 v12, v12
	v_fma_f32 v12, 0x30000000, v12, 0
	v_mul_f32_e32 v12, v12, v12
	v_fmac_f32_e32 v12, v11, v11
	v_sqrt_f32_e32 v11, v10
	v_mul_f32_e32 v13, 0x4f800000, v12
	v_cmp_gt_f32_e64 s2, 0xf800000, v12
	v_cndmask_b32_e64 v12, v12, v13, s2
	v_add_nc_u32_e32 v13, -1, v11
	v_add_nc_u32_e32 v15, 1, v11
	v_sqrt_f32_e32 v16, v12
	v_fma_f32 v17, -v13, v11, v10
	v_fma_f32 v18, -v15, v11, v10
	v_cmp_ge_f32_e64 s3, 0, v17
	v_cndmask_b32_e64 v11, v11, v13, s3
	v_cmp_lt_f32_e64 s3, 0, v18
	v_add_nc_u32_e32 v13, -1, v16
	v_cndmask_b32_e64 v11, v11, v15, s3
	v_add_nc_u32_e32 v15, 1, v16
	v_fma_f32 v17, -v13, v16, v12
	v_mul_f32_e32 v18, 0x37800000, v11
	v_fma_f32 v19, -v15, v16, v12
	v_cmp_ge_f32_e64 s3, 0, v17
	v_cndmask_b32_e32 v11, v11, v18, vcc_lo
	v_cmp_class_f32_e64 vcc_lo, v10, 0x260
	v_cndmask_b32_e64 v13, v16, v13, s3
	v_cmp_lt_f32_e64 s3, 0, v19
	v_cndmask_b32_e32 v10, v11, v10, vcc_lo
	v_cndmask_b32_e64 v13, v13, v15, s3
	v_cmp_nge_f32_e32 vcc_lo, 1.0, v10
	v_mul_f32_e32 v11, 0x37800000, v13
	v_cndmask_b32_e32 v4, v14, v4, vcc_lo
	v_cmp_class_f32_e64 vcc_lo, v12, 0x260
	v_cndmask_b32_e64 v10, v13, v11, s2
	v_add_f32_e32 v11, 1.0, v4
	v_cndmask_b32_e32 v10, v10, v12, vcc_lo
	v_cmp_nge_f32_e32 vcc_lo, 1.0, v10
	v_cndmask_b32_e32 v4, v11, v4, vcc_lo
	s_cbranch_scc1 .LBB35_362
; %bb.363:
	v_mul_f32_e32 v4, 4.0, v4
	v_div_scale_f32 v9, null, 0x461c4000, 0x461c4000, v4
	v_rcp_f32_e32 v10, v9
	v_fma_f32 v11, -v9, v10, 1.0
	v_fmac_f32_e32 v10, v11, v10
	v_div_scale_f32 v11, vcc_lo, v4, 0x461c4000, v4
	v_mul_f32_e32 v12, v11, v10
	v_fma_f32 v13, -v9, v12, v11
	v_fmac_f32_e32 v12, v13, v10
	v_fma_f32 v9, -v9, v12, v11
	v_div_fmas_f32 v9, v9, v10, v12
	v_div_fixup_f32 v4, v9, 0x461c4000, v4
.LBB35_364:
	s_or_b32 exec_lo, exec_lo, s8
	v_or_b32_e32 v9, 0x300, v0
	v_cmp_gt_u32_e64 s2, s13, v9
	s_and_saveexec_b32 s9, s2
	s_cbranch_execz .LBB35_368
; %bb.365:
	v_add_nc_u32_e32 v5, s12, v9
	s_movk_i32 s10, 0x2710
	v_lshlrev_b32_e32 v9, 12, v5
	v_add3_u32 v5, v5, v9, 0x7ed55d16
	v_lshrrev_b32_e32 v9, 19, v5
	v_xor3_b32 v5, v5, v9, 0xc761c23c
	v_lshl_add_u32 v5, v5, 5, v5
	v_add_nc_u32_e32 v9, 0xe9f8cc1d, v5
	v_lshl_add_u32 v5, v5, 9, 0xaccf6200
	v_xor_b32_e32 v5, v9, v5
	v_lshlrev_b32_e32 v9, 3, v5
	v_add3_u32 v5, v5, v9, 0xfd7046c5
	v_lshrrev_b32_e32 v9, 16, v5
	v_xor3_b32 v5, v5, v9, 0xb55a4f09
	v_mul_hi_u32 v9, v5, 3
	v_sub_nc_u32_e32 v10, v5, v9
	v_lshrrev_b32_e32 v10, 1, v10
	v_add_nc_u32_e32 v9, v10, v9
	v_lshrrev_b32_e32 v9, 30, v9
	v_mul_lo_u32 v9, 0x7fffffff, v9
	v_sub_nc_u32_e32 v5, v5, v9
	v_max_u32_e32 v9, 1, v5
	v_mov_b32_e32 v5, 0
.LBB35_366:                             ; =>This Inner Loop Header: Depth=1
	v_mul_hi_u32 v10, 0xbc8f1391, v9
	s_add_i32 s10, s10, -2
	s_cmp_lg_u32 s10, 0
	v_lshrrev_b32_e32 v10, 15, v10
	v_mul_u32_u24_e32 v11, 0xadc8, v10
	v_mul_u32_u24_e32 v10, 0xd47, v10
	v_sub_nc_u32_e32 v9, v9, v11
	v_xor_b32_e32 v11, 0x7fffffff, v10
	v_sub_nc_u32_e32 v12, 0, v10
	v_mul_lo_u32 v9, 0xbc8f, v9
	v_cmp_lt_u32_e32 vcc_lo, v9, v10
	v_cndmask_b32_e32 v10, v12, v11, vcc_lo
	v_add_nc_u32_e32 v9, v10, v9
	v_mul_hi_u32 v10, 0xbc8f1391, v9
	v_lshrrev_b32_e32 v10, 15, v10
	v_mul_u32_u24_e32 v11, 0xadc8, v10
	v_mul_u32_u24_e32 v10, 0xd47, v10
	v_sub_nc_u32_e32 v11, v9, v11
	v_xor_b32_e32 v12, 0x7fffffff, v10
	v_sub_nc_u32_e32 v13, 0, v10
	v_add_nc_u32_e32 v9, -1, v9
	v_mul_lo_u32 v11, 0xbc8f, v11
	v_cvt_f32_u32_e32 v9, v9
	v_cmp_lt_u32_e32 vcc_lo, v11, v10
	v_cndmask_b32_e32 v10, v13, v12, vcc_lo
	v_add_nc_u32_e32 v10, v10, v11
	v_mul_hi_u32 v11, 0xbc8f1391, v10
	v_lshrrev_b32_e32 v11, 15, v11
	v_mul_u32_u24_e32 v12, 0xadc8, v11
	v_mul_u32_u24_e32 v11, 0xd47, v11
	v_sub_nc_u32_e32 v12, v10, v12
	v_xor_b32_e32 v13, 0x7fffffff, v11
	v_sub_nc_u32_e32 v14, 0, v11
	v_add_nc_u32_e32 v10, -1, v10
	v_mul_lo_u32 v12, 0xbc8f, v12
	v_cvt_f32_u32_e32 v10, v10
	v_fma_f32 v10, 0x30000000, v10, 0
	v_cmp_lt_u32_e32 vcc_lo, v12, v11
	v_mul_f32_e32 v10, v10, v10
	v_cndmask_b32_e32 v11, v14, v13, vcc_lo
	v_fma_f32 v13, 0x30000000, v9, 0
	v_add_nc_u32_e32 v11, v11, v12
	v_fmac_f32_e32 v10, v13, v13
	v_mul_hi_u32 v12, 0xbc8f1391, v11
	v_mul_f32_e32 v13, 0x4f800000, v10
	v_lshrrev_b32_e32 v9, 15, v12
	v_mul_u32_u24_e32 v12, 0xadc8, v9
	v_mul_u32_u24_e32 v9, 0xd47, v9
	v_sub_nc_u32_e32 v12, v11, v12
	v_xor_b32_e32 v14, 0x7fffffff, v9
	v_sub_nc_u32_e32 v15, 0, v9
	v_add_nc_u32_e32 v11, -1, v11
	v_mul_lo_u32 v12, 0xbc8f, v12
	v_cvt_f32_u32_e32 v11, v11
	v_fma_f32 v11, 0x30000000, v11, 0
	v_cmp_lt_u32_e32 vcc_lo, v12, v9
	v_cndmask_b32_e32 v9, v15, v14, vcc_lo
	v_cmp_gt_f32_e32 vcc_lo, 0xf800000, v10
	v_add_f32_e32 v14, 1.0, v5
	v_add_nc_u32_e32 v9, v9, v12
	v_cndmask_b32_e32 v10, v10, v13, vcc_lo
	v_add_nc_u32_e32 v12, -1, v9
	v_cvt_f32_u32_e32 v12, v12
	v_fma_f32 v12, 0x30000000, v12, 0
	v_mul_f32_e32 v12, v12, v12
	v_fmac_f32_e32 v12, v11, v11
	v_sqrt_f32_e32 v11, v10
	v_mul_f32_e32 v13, 0x4f800000, v12
	v_cmp_gt_f32_e64 s3, 0xf800000, v12
	v_cndmask_b32_e64 v12, v12, v13, s3
	v_add_nc_u32_e32 v13, -1, v11
	v_add_nc_u32_e32 v15, 1, v11
	v_sqrt_f32_e32 v16, v12
	v_fma_f32 v17, -v13, v11, v10
	v_fma_f32 v18, -v15, v11, v10
	v_cmp_ge_f32_e64 s8, 0, v17
	v_cndmask_b32_e64 v11, v11, v13, s8
	v_cmp_lt_f32_e64 s8, 0, v18
	v_add_nc_u32_e32 v13, -1, v16
	v_cndmask_b32_e64 v11, v11, v15, s8
	v_add_nc_u32_e32 v15, 1, v16
	v_fma_f32 v17, -v13, v16, v12
	v_mul_f32_e32 v18, 0x37800000, v11
	v_fma_f32 v19, -v15, v16, v12
	v_cmp_ge_f32_e64 s8, 0, v17
	v_cndmask_b32_e32 v11, v11, v18, vcc_lo
	v_cmp_class_f32_e64 vcc_lo, v10, 0x260
	v_cndmask_b32_e64 v13, v16, v13, s8
	v_cmp_lt_f32_e64 s8, 0, v19
	v_cndmask_b32_e32 v10, v11, v10, vcc_lo
	v_cndmask_b32_e64 v13, v13, v15, s8
	v_cmp_nge_f32_e32 vcc_lo, 1.0, v10
	v_mul_f32_e32 v11, 0x37800000, v13
	v_cndmask_b32_e32 v5, v14, v5, vcc_lo
	v_cmp_class_f32_e64 vcc_lo, v12, 0x260
	v_cndmask_b32_e64 v10, v13, v11, s3
	v_add_f32_e32 v11, 1.0, v5
	v_cndmask_b32_e32 v10, v10, v12, vcc_lo
	v_cmp_nge_f32_e32 vcc_lo, 1.0, v10
	v_cndmask_b32_e32 v5, v11, v5, vcc_lo
	s_cbranch_scc1 .LBB35_366
; %bb.367:
	v_mul_f32_e32 v5, 4.0, v5
	v_div_scale_f32 v9, null, 0x461c4000, 0x461c4000, v5
	v_rcp_f32_e32 v10, v9
	v_fma_f32 v11, -v9, v10, 1.0
	v_fmac_f32_e32 v10, v11, v10
	v_div_scale_f32 v11, vcc_lo, v5, 0x461c4000, v5
	v_mul_f32_e32 v12, v11, v10
	v_fma_f32 v13, -v9, v12, v11
	v_fmac_f32_e32 v12, v13, v10
	v_fma_f32 v9, -v9, v12, v11
	v_div_fmas_f32 v9, v9, v10, v12
	v_div_fixup_f32 v5, v9, 0x461c4000, v5
.LBB35_368:
	s_or_b32 exec_lo, exec_lo, s9
	v_or_b32_e32 v9, 0x400, v0
	v_cmp_gt_u32_e64 s3, s13, v9
	s_and_saveexec_b32 s10, s3
	s_cbranch_execz .LBB35_372
; %bb.369:
	v_add_nc_u32_e32 v6, s12, v9
	s_movk_i32 s11, 0x2710
	v_lshlrev_b32_e32 v9, 12, v6
	v_add3_u32 v6, v6, v9, 0x7ed55d16
	v_lshrrev_b32_e32 v9, 19, v6
	v_xor3_b32 v6, v6, v9, 0xc761c23c
	v_lshl_add_u32 v6, v6, 5, v6
	v_add_nc_u32_e32 v9, 0xe9f8cc1d, v6
	v_lshl_add_u32 v6, v6, 9, 0xaccf6200
	v_xor_b32_e32 v6, v9, v6
	v_lshlrev_b32_e32 v9, 3, v6
	v_add3_u32 v6, v6, v9, 0xfd7046c5
	v_lshrrev_b32_e32 v9, 16, v6
	v_xor3_b32 v6, v6, v9, 0xb55a4f09
	v_mul_hi_u32 v9, v6, 3
	v_sub_nc_u32_e32 v10, v6, v9
	v_lshrrev_b32_e32 v10, 1, v10
	v_add_nc_u32_e32 v9, v10, v9
	v_lshrrev_b32_e32 v9, 30, v9
	v_mul_lo_u32 v9, 0x7fffffff, v9
	v_sub_nc_u32_e32 v6, v6, v9
	v_max_u32_e32 v9, 1, v6
	v_mov_b32_e32 v6, 0
.LBB35_370:                             ; =>This Inner Loop Header: Depth=1
	v_mul_hi_u32 v10, 0xbc8f1391, v9
	s_add_i32 s11, s11, -2
	s_cmp_lg_u32 s11, 0
	v_lshrrev_b32_e32 v10, 15, v10
	v_mul_u32_u24_e32 v11, 0xadc8, v10
	v_mul_u32_u24_e32 v10, 0xd47, v10
	v_sub_nc_u32_e32 v9, v9, v11
	v_xor_b32_e32 v11, 0x7fffffff, v10
	v_sub_nc_u32_e32 v12, 0, v10
	v_mul_lo_u32 v9, 0xbc8f, v9
	v_cmp_lt_u32_e32 vcc_lo, v9, v10
	v_cndmask_b32_e32 v10, v12, v11, vcc_lo
	v_add_nc_u32_e32 v9, v10, v9
	v_mul_hi_u32 v10, 0xbc8f1391, v9
	v_lshrrev_b32_e32 v10, 15, v10
	v_mul_u32_u24_e32 v11, 0xadc8, v10
	v_mul_u32_u24_e32 v10, 0xd47, v10
	v_sub_nc_u32_e32 v11, v9, v11
	v_xor_b32_e32 v12, 0x7fffffff, v10
	v_sub_nc_u32_e32 v13, 0, v10
	v_add_nc_u32_e32 v9, -1, v9
	v_mul_lo_u32 v11, 0xbc8f, v11
	v_cvt_f32_u32_e32 v9, v9
	v_cmp_lt_u32_e32 vcc_lo, v11, v10
	v_cndmask_b32_e32 v10, v13, v12, vcc_lo
	v_add_nc_u32_e32 v10, v10, v11
	v_mul_hi_u32 v11, 0xbc8f1391, v10
	v_lshrrev_b32_e32 v11, 15, v11
	v_mul_u32_u24_e32 v12, 0xadc8, v11
	v_mul_u32_u24_e32 v11, 0xd47, v11
	v_sub_nc_u32_e32 v12, v10, v12
	v_xor_b32_e32 v13, 0x7fffffff, v11
	v_sub_nc_u32_e32 v14, 0, v11
	v_add_nc_u32_e32 v10, -1, v10
	v_mul_lo_u32 v12, 0xbc8f, v12
	v_cvt_f32_u32_e32 v10, v10
	v_fma_f32 v10, 0x30000000, v10, 0
	v_cmp_lt_u32_e32 vcc_lo, v12, v11
	v_mul_f32_e32 v10, v10, v10
	v_cndmask_b32_e32 v11, v14, v13, vcc_lo
	v_fma_f32 v13, 0x30000000, v9, 0
	v_add_nc_u32_e32 v11, v11, v12
	v_fmac_f32_e32 v10, v13, v13
	v_mul_hi_u32 v12, 0xbc8f1391, v11
	v_mul_f32_e32 v13, 0x4f800000, v10
	v_lshrrev_b32_e32 v9, 15, v12
	v_mul_u32_u24_e32 v12, 0xadc8, v9
	v_mul_u32_u24_e32 v9, 0xd47, v9
	v_sub_nc_u32_e32 v12, v11, v12
	v_xor_b32_e32 v14, 0x7fffffff, v9
	v_sub_nc_u32_e32 v15, 0, v9
	v_add_nc_u32_e32 v11, -1, v11
	v_mul_lo_u32 v12, 0xbc8f, v12
	v_cvt_f32_u32_e32 v11, v11
	v_fma_f32 v11, 0x30000000, v11, 0
	v_cmp_lt_u32_e32 vcc_lo, v12, v9
	v_cndmask_b32_e32 v9, v15, v14, vcc_lo
	v_cmp_gt_f32_e32 vcc_lo, 0xf800000, v10
	v_add_f32_e32 v14, 1.0, v6
	v_add_nc_u32_e32 v9, v9, v12
	v_cndmask_b32_e32 v10, v10, v13, vcc_lo
	v_add_nc_u32_e32 v12, -1, v9
	v_cvt_f32_u32_e32 v12, v12
	v_fma_f32 v12, 0x30000000, v12, 0
	v_mul_f32_e32 v12, v12, v12
	v_fmac_f32_e32 v12, v11, v11
	v_sqrt_f32_e32 v11, v10
	v_mul_f32_e32 v13, 0x4f800000, v12
	v_cmp_gt_f32_e64 s8, 0xf800000, v12
	v_cndmask_b32_e64 v12, v12, v13, s8
	v_add_nc_u32_e32 v13, -1, v11
	v_add_nc_u32_e32 v15, 1, v11
	v_sqrt_f32_e32 v16, v12
	v_fma_f32 v17, -v13, v11, v10
	v_fma_f32 v18, -v15, v11, v10
	v_cmp_ge_f32_e64 s9, 0, v17
	v_cndmask_b32_e64 v11, v11, v13, s9
	v_cmp_lt_f32_e64 s9, 0, v18
	v_add_nc_u32_e32 v13, -1, v16
	v_cndmask_b32_e64 v11, v11, v15, s9
	v_add_nc_u32_e32 v15, 1, v16
	v_fma_f32 v17, -v13, v16, v12
	v_mul_f32_e32 v18, 0x37800000, v11
	v_fma_f32 v19, -v15, v16, v12
	v_cmp_ge_f32_e64 s9, 0, v17
	v_cndmask_b32_e32 v11, v11, v18, vcc_lo
	v_cmp_class_f32_e64 vcc_lo, v10, 0x260
	v_cndmask_b32_e64 v13, v16, v13, s9
	v_cmp_lt_f32_e64 s9, 0, v19
	v_cndmask_b32_e32 v10, v11, v10, vcc_lo
	v_cndmask_b32_e64 v13, v13, v15, s9
	v_cmp_nge_f32_e32 vcc_lo, 1.0, v10
	v_mul_f32_e32 v11, 0x37800000, v13
	v_cndmask_b32_e32 v6, v14, v6, vcc_lo
	v_cmp_class_f32_e64 vcc_lo, v12, 0x260
	v_cndmask_b32_e64 v10, v13, v11, s8
	v_add_f32_e32 v11, 1.0, v6
	v_cndmask_b32_e32 v10, v10, v12, vcc_lo
	v_cmp_nge_f32_e32 vcc_lo, 1.0, v10
	v_cndmask_b32_e32 v6, v11, v6, vcc_lo
	s_cbranch_scc1 .LBB35_370
; %bb.371:
	v_mul_f32_e32 v6, 4.0, v6
	v_div_scale_f32 v9, null, 0x461c4000, 0x461c4000, v6
	v_rcp_f32_e32 v10, v9
	v_fma_f32 v11, -v9, v10, 1.0
	v_fmac_f32_e32 v10, v11, v10
	v_div_scale_f32 v11, vcc_lo, v6, 0x461c4000, v6
	v_mul_f32_e32 v12, v11, v10
	v_fma_f32 v13, -v9, v12, v11
	v_fmac_f32_e32 v12, v13, v10
	v_fma_f32 v9, -v9, v12, v11
	v_div_fmas_f32 v9, v9, v10, v12
	v_div_fixup_f32 v6, v9, 0x461c4000, v6
.LBB35_372:
	s_or_b32 exec_lo, exec_lo, s10
	v_or_b32_e32 v9, 0x500, v0
	v_cmp_gt_u32_e64 s8, s13, v9
	s_and_saveexec_b32 s11, s8
	s_cbranch_execz .LBB35_376
; %bb.373:
	v_add_nc_u32_e32 v7, s12, v9
	s_movk_i32 s14, 0x2710
	v_lshlrev_b32_e32 v9, 12, v7
	v_add3_u32 v7, v7, v9, 0x7ed55d16
	v_lshrrev_b32_e32 v9, 19, v7
	v_xor3_b32 v7, v7, v9, 0xc761c23c
	v_lshl_add_u32 v7, v7, 5, v7
	v_add_nc_u32_e32 v9, 0xe9f8cc1d, v7
	v_lshl_add_u32 v7, v7, 9, 0xaccf6200
	v_xor_b32_e32 v7, v9, v7
	v_lshlrev_b32_e32 v9, 3, v7
	v_add3_u32 v7, v7, v9, 0xfd7046c5
	v_lshrrev_b32_e32 v9, 16, v7
	v_xor3_b32 v7, v7, v9, 0xb55a4f09
	v_mul_hi_u32 v9, v7, 3
	v_sub_nc_u32_e32 v10, v7, v9
	v_lshrrev_b32_e32 v10, 1, v10
	v_add_nc_u32_e32 v9, v10, v9
	v_lshrrev_b32_e32 v9, 30, v9
	v_mul_lo_u32 v9, 0x7fffffff, v9
	v_sub_nc_u32_e32 v7, v7, v9
	v_max_u32_e32 v9, 1, v7
	v_mov_b32_e32 v7, 0
.LBB35_374:                             ; =>This Inner Loop Header: Depth=1
	v_mul_hi_u32 v10, 0xbc8f1391, v9
	s_add_i32 s14, s14, -2
	s_cmp_lg_u32 s14, 0
	v_lshrrev_b32_e32 v10, 15, v10
	v_mul_u32_u24_e32 v11, 0xadc8, v10
	v_mul_u32_u24_e32 v10, 0xd47, v10
	v_sub_nc_u32_e32 v9, v9, v11
	v_xor_b32_e32 v11, 0x7fffffff, v10
	v_sub_nc_u32_e32 v12, 0, v10
	v_mul_lo_u32 v9, 0xbc8f, v9
	v_cmp_lt_u32_e32 vcc_lo, v9, v10
	v_cndmask_b32_e32 v10, v12, v11, vcc_lo
	v_add_nc_u32_e32 v9, v10, v9
	v_mul_hi_u32 v10, 0xbc8f1391, v9
	v_lshrrev_b32_e32 v10, 15, v10
	v_mul_u32_u24_e32 v11, 0xadc8, v10
	v_mul_u32_u24_e32 v10, 0xd47, v10
	v_sub_nc_u32_e32 v11, v9, v11
	v_xor_b32_e32 v12, 0x7fffffff, v10
	v_sub_nc_u32_e32 v13, 0, v10
	v_add_nc_u32_e32 v9, -1, v9
	v_mul_lo_u32 v11, 0xbc8f, v11
	v_cvt_f32_u32_e32 v9, v9
	v_cmp_lt_u32_e32 vcc_lo, v11, v10
	v_cndmask_b32_e32 v10, v13, v12, vcc_lo
	v_add_nc_u32_e32 v10, v10, v11
	v_mul_hi_u32 v11, 0xbc8f1391, v10
	v_lshrrev_b32_e32 v11, 15, v11
	v_mul_u32_u24_e32 v12, 0xadc8, v11
	v_mul_u32_u24_e32 v11, 0xd47, v11
	v_sub_nc_u32_e32 v12, v10, v12
	v_xor_b32_e32 v13, 0x7fffffff, v11
	v_sub_nc_u32_e32 v14, 0, v11
	v_add_nc_u32_e32 v10, -1, v10
	v_mul_lo_u32 v12, 0xbc8f, v12
	v_cvt_f32_u32_e32 v10, v10
	v_fma_f32 v10, 0x30000000, v10, 0
	v_cmp_lt_u32_e32 vcc_lo, v12, v11
	v_mul_f32_e32 v10, v10, v10
	v_cndmask_b32_e32 v11, v14, v13, vcc_lo
	v_fma_f32 v13, 0x30000000, v9, 0
	v_add_nc_u32_e32 v11, v11, v12
	v_fmac_f32_e32 v10, v13, v13
	v_mul_hi_u32 v12, 0xbc8f1391, v11
	v_mul_f32_e32 v13, 0x4f800000, v10
	v_lshrrev_b32_e32 v9, 15, v12
	v_mul_u32_u24_e32 v12, 0xadc8, v9
	v_mul_u32_u24_e32 v9, 0xd47, v9
	v_sub_nc_u32_e32 v12, v11, v12
	v_xor_b32_e32 v14, 0x7fffffff, v9
	v_sub_nc_u32_e32 v15, 0, v9
	v_add_nc_u32_e32 v11, -1, v11
	v_mul_lo_u32 v12, 0xbc8f, v12
	v_cvt_f32_u32_e32 v11, v11
	v_fma_f32 v11, 0x30000000, v11, 0
	v_cmp_lt_u32_e32 vcc_lo, v12, v9
	v_cndmask_b32_e32 v9, v15, v14, vcc_lo
	v_cmp_gt_f32_e32 vcc_lo, 0xf800000, v10
	v_add_f32_e32 v14, 1.0, v7
	v_add_nc_u32_e32 v9, v9, v12
	v_cndmask_b32_e32 v10, v10, v13, vcc_lo
	v_add_nc_u32_e32 v12, -1, v9
	v_cvt_f32_u32_e32 v12, v12
	v_fma_f32 v12, 0x30000000, v12, 0
	v_mul_f32_e32 v12, v12, v12
	v_fmac_f32_e32 v12, v11, v11
	v_sqrt_f32_e32 v11, v10
	v_mul_f32_e32 v13, 0x4f800000, v12
	v_cmp_gt_f32_e64 s9, 0xf800000, v12
	v_cndmask_b32_e64 v12, v12, v13, s9
	v_add_nc_u32_e32 v13, -1, v11
	v_add_nc_u32_e32 v15, 1, v11
	v_sqrt_f32_e32 v16, v12
	v_fma_f32 v17, -v13, v11, v10
	v_fma_f32 v18, -v15, v11, v10
	v_cmp_ge_f32_e64 s10, 0, v17
	v_cndmask_b32_e64 v11, v11, v13, s10
	v_cmp_lt_f32_e64 s10, 0, v18
	v_add_nc_u32_e32 v13, -1, v16
	v_cndmask_b32_e64 v11, v11, v15, s10
	v_add_nc_u32_e32 v15, 1, v16
	v_fma_f32 v17, -v13, v16, v12
	v_mul_f32_e32 v18, 0x37800000, v11
	v_fma_f32 v19, -v15, v16, v12
	v_cmp_ge_f32_e64 s10, 0, v17
	v_cndmask_b32_e32 v11, v11, v18, vcc_lo
	v_cmp_class_f32_e64 vcc_lo, v10, 0x260
	v_cndmask_b32_e64 v13, v16, v13, s10
	v_cmp_lt_f32_e64 s10, 0, v19
	v_cndmask_b32_e32 v10, v11, v10, vcc_lo
	v_cndmask_b32_e64 v13, v13, v15, s10
	v_cmp_nge_f32_e32 vcc_lo, 1.0, v10
	v_mul_f32_e32 v11, 0x37800000, v13
	v_cndmask_b32_e32 v7, v14, v7, vcc_lo
	v_cmp_class_f32_e64 vcc_lo, v12, 0x260
	v_cndmask_b32_e64 v10, v13, v11, s9
	v_add_f32_e32 v11, 1.0, v7
	v_cndmask_b32_e32 v10, v10, v12, vcc_lo
	v_cmp_nge_f32_e32 vcc_lo, 1.0, v10
	v_cndmask_b32_e32 v7, v11, v7, vcc_lo
	s_cbranch_scc1 .LBB35_374
; %bb.375:
	v_mul_f32_e32 v7, 4.0, v7
	v_div_scale_f32 v9, null, 0x461c4000, 0x461c4000, v7
	v_rcp_f32_e32 v10, v9
	v_fma_f32 v11, -v9, v10, 1.0
	v_fmac_f32_e32 v10, v11, v10
	v_div_scale_f32 v11, vcc_lo, v7, 0x461c4000, v7
	v_mul_f32_e32 v12, v11, v10
	v_fma_f32 v13, -v9, v12, v11
	v_fmac_f32_e32 v12, v13, v10
	v_fma_f32 v9, -v9, v12, v11
	v_div_fmas_f32 v9, v9, v10, v12
	v_div_fixup_f32 v7, v9, 0x461c4000, v7
.LBB35_376:
	s_or_b32 exec_lo, exec_lo, s11
	v_or_b32_e32 v9, 0x600, v0
	v_cmp_gt_u32_e64 s9, s13, v9
	s_and_saveexec_b32 s14, s9
	s_cbranch_execz .LBB35_380
; %bb.377:
	v_add_nc_u32_e32 v8, s12, v9
	s_movk_i32 s15, 0x2710
	v_lshlrev_b32_e32 v9, 12, v8
	v_add3_u32 v8, v8, v9, 0x7ed55d16
	v_lshrrev_b32_e32 v9, 19, v8
	v_xor3_b32 v8, v8, v9, 0xc761c23c
	v_lshl_add_u32 v8, v8, 5, v8
	v_add_nc_u32_e32 v9, 0xe9f8cc1d, v8
	v_lshl_add_u32 v8, v8, 9, 0xaccf6200
	v_xor_b32_e32 v8, v9, v8
	v_lshlrev_b32_e32 v9, 3, v8
	v_add3_u32 v8, v8, v9, 0xfd7046c5
	v_lshrrev_b32_e32 v9, 16, v8
	v_xor3_b32 v8, v8, v9, 0xb55a4f09
	v_mul_hi_u32 v9, v8, 3
	v_sub_nc_u32_e32 v10, v8, v9
	v_lshrrev_b32_e32 v10, 1, v10
	v_add_nc_u32_e32 v9, v10, v9
	v_lshrrev_b32_e32 v9, 30, v9
	v_mul_lo_u32 v9, 0x7fffffff, v9
	v_sub_nc_u32_e32 v8, v8, v9
	v_max_u32_e32 v9, 1, v8
	v_mov_b32_e32 v8, 0
.LBB35_378:                             ; =>This Inner Loop Header: Depth=1
	v_mul_hi_u32 v10, 0xbc8f1391, v9
	s_add_i32 s15, s15, -2
	s_cmp_lg_u32 s15, 0
	v_lshrrev_b32_e32 v10, 15, v10
	v_mul_u32_u24_e32 v11, 0xadc8, v10
	v_mul_u32_u24_e32 v10, 0xd47, v10
	v_sub_nc_u32_e32 v9, v9, v11
	v_xor_b32_e32 v11, 0x7fffffff, v10
	v_sub_nc_u32_e32 v12, 0, v10
	v_mul_lo_u32 v9, 0xbc8f, v9
	v_cmp_lt_u32_e32 vcc_lo, v9, v10
	v_cndmask_b32_e32 v10, v12, v11, vcc_lo
	v_add_nc_u32_e32 v9, v10, v9
	v_mul_hi_u32 v10, 0xbc8f1391, v9
	v_lshrrev_b32_e32 v10, 15, v10
	v_mul_u32_u24_e32 v11, 0xadc8, v10
	v_mul_u32_u24_e32 v10, 0xd47, v10
	v_sub_nc_u32_e32 v11, v9, v11
	v_xor_b32_e32 v12, 0x7fffffff, v10
	v_sub_nc_u32_e32 v13, 0, v10
	v_add_nc_u32_e32 v9, -1, v9
	v_mul_lo_u32 v11, 0xbc8f, v11
	v_cvt_f32_u32_e32 v9, v9
	v_cmp_lt_u32_e32 vcc_lo, v11, v10
	v_cndmask_b32_e32 v10, v13, v12, vcc_lo
	v_add_nc_u32_e32 v10, v10, v11
	v_mul_hi_u32 v11, 0xbc8f1391, v10
	v_lshrrev_b32_e32 v11, 15, v11
	v_mul_u32_u24_e32 v12, 0xadc8, v11
	v_mul_u32_u24_e32 v11, 0xd47, v11
	v_sub_nc_u32_e32 v12, v10, v12
	v_xor_b32_e32 v13, 0x7fffffff, v11
	v_sub_nc_u32_e32 v14, 0, v11
	v_add_nc_u32_e32 v10, -1, v10
	v_mul_lo_u32 v12, 0xbc8f, v12
	v_cvt_f32_u32_e32 v10, v10
	v_fma_f32 v10, 0x30000000, v10, 0
	v_cmp_lt_u32_e32 vcc_lo, v12, v11
	v_mul_f32_e32 v10, v10, v10
	v_cndmask_b32_e32 v11, v14, v13, vcc_lo
	v_fma_f32 v13, 0x30000000, v9, 0
	v_add_nc_u32_e32 v11, v11, v12
	v_fmac_f32_e32 v10, v13, v13
	v_mul_hi_u32 v12, 0xbc8f1391, v11
	v_mul_f32_e32 v13, 0x4f800000, v10
	v_lshrrev_b32_e32 v9, 15, v12
	v_mul_u32_u24_e32 v12, 0xadc8, v9
	v_mul_u32_u24_e32 v9, 0xd47, v9
	v_sub_nc_u32_e32 v12, v11, v12
	v_xor_b32_e32 v14, 0x7fffffff, v9
	v_sub_nc_u32_e32 v15, 0, v9
	v_add_nc_u32_e32 v11, -1, v11
	v_mul_lo_u32 v12, 0xbc8f, v12
	v_cvt_f32_u32_e32 v11, v11
	v_fma_f32 v11, 0x30000000, v11, 0
	v_cmp_lt_u32_e32 vcc_lo, v12, v9
	v_cndmask_b32_e32 v9, v15, v14, vcc_lo
	v_cmp_gt_f32_e32 vcc_lo, 0xf800000, v10
	v_add_f32_e32 v14, 1.0, v8
	v_add_nc_u32_e32 v9, v9, v12
	v_cndmask_b32_e32 v10, v10, v13, vcc_lo
	v_add_nc_u32_e32 v12, -1, v9
	v_cvt_f32_u32_e32 v12, v12
	v_fma_f32 v12, 0x30000000, v12, 0
	v_mul_f32_e32 v12, v12, v12
	v_fmac_f32_e32 v12, v11, v11
	v_sqrt_f32_e32 v11, v10
	v_mul_f32_e32 v13, 0x4f800000, v12
	v_cmp_gt_f32_e64 s10, 0xf800000, v12
	v_cndmask_b32_e64 v12, v12, v13, s10
	v_add_nc_u32_e32 v13, -1, v11
	v_add_nc_u32_e32 v15, 1, v11
	v_sqrt_f32_e32 v16, v12
	v_fma_f32 v17, -v13, v11, v10
	v_fma_f32 v18, -v15, v11, v10
	v_cmp_ge_f32_e64 s11, 0, v17
	v_cndmask_b32_e64 v11, v11, v13, s11
	v_cmp_lt_f32_e64 s11, 0, v18
	v_add_nc_u32_e32 v13, -1, v16
	v_cndmask_b32_e64 v11, v11, v15, s11
	v_add_nc_u32_e32 v15, 1, v16
	v_fma_f32 v17, -v13, v16, v12
	v_mul_f32_e32 v18, 0x37800000, v11
	v_fma_f32 v19, -v15, v16, v12
	v_cmp_ge_f32_e64 s11, 0, v17
	v_cndmask_b32_e32 v11, v11, v18, vcc_lo
	v_cmp_class_f32_e64 vcc_lo, v10, 0x260
	v_cndmask_b32_e64 v13, v16, v13, s11
	v_cmp_lt_f32_e64 s11, 0, v19
	v_cndmask_b32_e32 v10, v11, v10, vcc_lo
	v_cndmask_b32_e64 v13, v13, v15, s11
	v_cmp_nge_f32_e32 vcc_lo, 1.0, v10
	v_mul_f32_e32 v11, 0x37800000, v13
	v_cndmask_b32_e32 v8, v14, v8, vcc_lo
	v_cmp_class_f32_e64 vcc_lo, v12, 0x260
	v_cndmask_b32_e64 v10, v13, v11, s10
	v_add_f32_e32 v11, 1.0, v8
	v_cndmask_b32_e32 v10, v10, v12, vcc_lo
	v_cmp_nge_f32_e32 vcc_lo, 1.0, v10
	v_cndmask_b32_e32 v8, v11, v8, vcc_lo
	s_cbranch_scc1 .LBB35_378
; %bb.379:
	v_mul_f32_e32 v8, 4.0, v8
	v_div_scale_f32 v9, null, 0x461c4000, 0x461c4000, v8
	v_rcp_f32_e32 v10, v9
	v_fma_f32 v11, -v9, v10, 1.0
	v_fmac_f32_e32 v10, v11, v10
	v_div_scale_f32 v11, vcc_lo, v8, 0x461c4000, v8
	v_mul_f32_e32 v12, v11, v10
	v_fma_f32 v13, -v9, v12, v11
	v_fmac_f32_e32 v12, v13, v10
	v_fma_f32 v9, -v9, v12, v11
	v_div_fmas_f32 v9, v9, v10, v12
	v_div_fixup_f32 v8, v9, 0x461c4000, v8
.LBB35_380:
	s_or_b32 exec_lo, exec_lo, s14
	v_or_b32_e32 v9, 0x700, v0
	v_cmp_gt_u32_e64 s10, s13, v9
	s_and_saveexec_b32 s14, s10
	s_cbranch_execz .LBB35_384
; %bb.381:
	v_add_nc_u32_e32 v2, s12, v9
	s_movk_i32 s15, 0x2710
	v_lshlrev_b32_e32 v9, 12, v2
	v_add3_u32 v2, v2, v9, 0x7ed55d16
	v_lshrrev_b32_e32 v9, 19, v2
	v_xor3_b32 v2, v2, v9, 0xc761c23c
	v_lshl_add_u32 v2, v2, 5, v2
	v_add_nc_u32_e32 v9, 0xe9f8cc1d, v2
	v_lshl_add_u32 v2, v2, 9, 0xaccf6200
	v_xor_b32_e32 v2, v9, v2
	v_lshlrev_b32_e32 v9, 3, v2
	v_add3_u32 v2, v2, v9, 0xfd7046c5
	v_lshrrev_b32_e32 v9, 16, v2
	v_xor3_b32 v2, v2, v9, 0xb55a4f09
	v_mul_hi_u32 v9, v2, 3
	v_sub_nc_u32_e32 v10, v2, v9
	v_lshrrev_b32_e32 v10, 1, v10
	v_add_nc_u32_e32 v9, v10, v9
	v_lshrrev_b32_e32 v9, 30, v9
	v_mul_lo_u32 v9, 0x7fffffff, v9
	v_sub_nc_u32_e32 v2, v2, v9
	v_max_u32_e32 v9, 1, v2
	v_mov_b32_e32 v2, 0
.LBB35_382:                             ; =>This Inner Loop Header: Depth=1
	v_mul_hi_u32 v10, 0xbc8f1391, v9
	s_add_i32 s15, s15, -2
	s_cmp_lg_u32 s15, 0
	v_lshrrev_b32_e32 v10, 15, v10
	v_mul_u32_u24_e32 v11, 0xadc8, v10
	v_mul_u32_u24_e32 v10, 0xd47, v10
	v_sub_nc_u32_e32 v9, v9, v11
	v_xor_b32_e32 v11, 0x7fffffff, v10
	v_sub_nc_u32_e32 v12, 0, v10
	v_mul_lo_u32 v9, 0xbc8f, v9
	v_cmp_lt_u32_e32 vcc_lo, v9, v10
	v_cndmask_b32_e32 v10, v12, v11, vcc_lo
	v_add_nc_u32_e32 v9, v10, v9
	v_mul_hi_u32 v10, 0xbc8f1391, v9
	v_lshrrev_b32_e32 v10, 15, v10
	v_mul_u32_u24_e32 v11, 0xadc8, v10
	v_mul_u32_u24_e32 v10, 0xd47, v10
	v_sub_nc_u32_e32 v11, v9, v11
	v_xor_b32_e32 v12, 0x7fffffff, v10
	v_sub_nc_u32_e32 v13, 0, v10
	v_add_nc_u32_e32 v9, -1, v9
	v_mul_lo_u32 v11, 0xbc8f, v11
	v_cvt_f32_u32_e32 v9, v9
	v_cmp_lt_u32_e32 vcc_lo, v11, v10
	v_cndmask_b32_e32 v10, v13, v12, vcc_lo
	v_add_nc_u32_e32 v10, v10, v11
	v_mul_hi_u32 v11, 0xbc8f1391, v10
	v_lshrrev_b32_e32 v11, 15, v11
	v_mul_u32_u24_e32 v12, 0xadc8, v11
	v_mul_u32_u24_e32 v11, 0xd47, v11
	v_sub_nc_u32_e32 v12, v10, v12
	v_xor_b32_e32 v13, 0x7fffffff, v11
	v_sub_nc_u32_e32 v14, 0, v11
	v_add_nc_u32_e32 v10, -1, v10
	v_mul_lo_u32 v12, 0xbc8f, v12
	v_cvt_f32_u32_e32 v10, v10
	v_fma_f32 v10, 0x30000000, v10, 0
	v_cmp_lt_u32_e32 vcc_lo, v12, v11
	v_mul_f32_e32 v10, v10, v10
	v_cndmask_b32_e32 v11, v14, v13, vcc_lo
	v_fma_f32 v13, 0x30000000, v9, 0
	v_add_nc_u32_e32 v11, v11, v12
	v_fmac_f32_e32 v10, v13, v13
	v_mul_hi_u32 v12, 0xbc8f1391, v11
	v_mul_f32_e32 v13, 0x4f800000, v10
	v_lshrrev_b32_e32 v9, 15, v12
	v_mul_u32_u24_e32 v12, 0xadc8, v9
	v_mul_u32_u24_e32 v9, 0xd47, v9
	v_sub_nc_u32_e32 v12, v11, v12
	v_xor_b32_e32 v14, 0x7fffffff, v9
	v_sub_nc_u32_e32 v15, 0, v9
	v_add_nc_u32_e32 v11, -1, v11
	v_mul_lo_u32 v12, 0xbc8f, v12
	v_cvt_f32_u32_e32 v11, v11
	v_fma_f32 v11, 0x30000000, v11, 0
	v_cmp_lt_u32_e32 vcc_lo, v12, v9
	v_cndmask_b32_e32 v9, v15, v14, vcc_lo
	v_cmp_gt_f32_e32 vcc_lo, 0xf800000, v10
	v_add_f32_e32 v14, 1.0, v2
	v_add_nc_u32_e32 v9, v9, v12
	v_cndmask_b32_e32 v10, v10, v13, vcc_lo
	v_add_nc_u32_e32 v12, -1, v9
	v_cvt_f32_u32_e32 v12, v12
	v_fma_f32 v12, 0x30000000, v12, 0
	v_mul_f32_e32 v12, v12, v12
	v_fmac_f32_e32 v12, v11, v11
	v_sqrt_f32_e32 v11, v10
	v_mul_f32_e32 v13, 0x4f800000, v12
	v_cmp_gt_f32_e64 s11, 0xf800000, v12
	v_cndmask_b32_e64 v12, v12, v13, s11
	v_add_nc_u32_e32 v13, -1, v11
	v_add_nc_u32_e32 v15, 1, v11
	v_sqrt_f32_e32 v16, v12
	v_fma_f32 v17, -v13, v11, v10
	v_fma_f32 v18, -v15, v11, v10
	v_cmp_ge_f32_e64 s12, 0, v17
	v_cndmask_b32_e64 v11, v11, v13, s12
	v_cmp_lt_f32_e64 s12, 0, v18
	v_add_nc_u32_e32 v13, -1, v16
	v_cndmask_b32_e64 v11, v11, v15, s12
	v_add_nc_u32_e32 v15, 1, v16
	v_fma_f32 v17, -v13, v16, v12
	v_mul_f32_e32 v18, 0x37800000, v11
	v_fma_f32 v19, -v15, v16, v12
	v_cmp_ge_f32_e64 s12, 0, v17
	v_cndmask_b32_e32 v11, v11, v18, vcc_lo
	v_cmp_class_f32_e64 vcc_lo, v10, 0x260
	v_cndmask_b32_e64 v13, v16, v13, s12
	v_cmp_lt_f32_e64 s12, 0, v19
	v_cndmask_b32_e32 v10, v11, v10, vcc_lo
	v_cndmask_b32_e64 v13, v13, v15, s12
	v_cmp_nge_f32_e32 vcc_lo, 1.0, v10
	v_mul_f32_e32 v11, 0x37800000, v13
	v_cndmask_b32_e32 v2, v14, v2, vcc_lo
	v_cmp_class_f32_e64 vcc_lo, v12, 0x260
	v_cndmask_b32_e64 v10, v13, v11, s11
	v_add_f32_e32 v11, 1.0, v2
	v_cndmask_b32_e32 v10, v10, v12, vcc_lo
	v_cmp_nge_f32_e32 vcc_lo, 1.0, v10
	v_cndmask_b32_e32 v2, v11, v2, vcc_lo
	s_cbranch_scc1 .LBB35_382
; %bb.383:
	v_mul_f32_e32 v2, 4.0, v2
	v_div_scale_f32 v9, null, 0x461c4000, 0x461c4000, v2
	v_rcp_f32_e32 v10, v9
	v_fma_f32 v11, -v9, v10, 1.0
	v_fmac_f32_e32 v10, v11, v10
	v_div_scale_f32 v11, vcc_lo, v2, 0x461c4000, v2
	v_mul_f32_e32 v12, v11, v10
	v_fma_f32 v13, -v9, v12, v11
	v_fmac_f32_e32 v12, v13, v10
	v_fma_f32 v9, -v9, v12, v11
	v_div_fmas_f32 v9, v9, v10, v12
	v_div_fixup_f32 v2, v9, 0x461c4000, v2
.LBB35_384:
	s_or_b32 exec_lo, exec_lo, s14
	v_add_f32_e32 v3, v1, v3
	v_cndmask_b32_e64 v1, v1, v3, s0
	v_add_f32_e32 v3, v4, v1
	v_cndmask_b32_e64 v1, v1, v3, s1
	s_min_u32 s1, s13, 0x100
	v_add_f32_e32 v3, v5, v1
	v_cndmask_b32_e64 v1, v1, v3, s2
	v_add_f32_e32 v3, v6, v1
	v_cndmask_b32_e64 v1, v1, v3, s3
	;; [unrolled: 2-line block ×3, first 2 shown]
	v_mbcnt_lo_u32_b32 v3, -1, 0
	v_add_f32_e32 v4, v8, v1
	v_cmp_ne_u32_e32 vcc_lo, 31, v3
	v_add_nc_u32_e32 v6, 1, v3
	v_cmp_gt_u32_e64 s0, 28, v3
	v_add_nc_u32_e32 v7, 2, v3
	v_cndmask_b32_e64 v1, v1, v4, s9
	v_add_co_ci_u32_e64 v4, null, 0, v3, vcc_lo
	v_cmp_gt_u32_e32 vcc_lo, 30, v3
	v_add_f32_e32 v2, v2, v1
	v_lshlrev_b32_e32 v4, 2, v4
	v_cndmask_b32_e64 v5, 0, 2, vcc_lo
	v_cndmask_b32_e64 v1, v1, v2, s10
	v_add_lshl_u32 v5, v5, v3, 2
	ds_bpermute_b32 v2, v4, v1
	v_and_b32_e32 v4, 0xe0, v0
	v_sub_nc_u32_e64 v4, s1, v4 clamp
	v_cmp_lt_u32_e32 vcc_lo, v6, v4
	v_cndmask_b32_e64 v6, 0, 4, s0
	v_cmp_lt_u32_e64 s0, v7, v4
	v_add_nc_u32_e32 v7, 4, v3
	v_add_lshl_u32 v6, v6, v3, 2
	s_waitcnt lgkmcnt(0)
	v_add_f32_e32 v2, v1, v2
	v_cndmask_b32_e32 v2, v1, v2, vcc_lo
	ds_bpermute_b32 v5, v5, v2
	s_waitcnt lgkmcnt(0)
	v_add_f32_e32 v5, v2, v5
	v_cndmask_b32_e64 v2, v2, v5, s0
	v_cmp_gt_u32_e64 s0, 24, v3
	ds_bpermute_b32 v5, v6, v2
	v_cndmask_b32_e64 v6, 0, 8, s0
	v_cmp_lt_u32_e64 s0, v7, v4
	v_add_nc_u32_e32 v7, 8, v3
	v_add_lshl_u32 v6, v6, v3, 2
	s_waitcnt lgkmcnt(0)
	v_add_f32_e32 v5, v2, v5
	v_cndmask_b32_e64 v5, v2, v5, s0
	v_lshlrev_b32_e32 v2, 2, v3
	v_cmp_lt_u32_e64 s0, v7, v4
	v_add_nc_u32_e32 v7, 16, v3
	ds_bpermute_b32 v6, v6, v5
	v_or_b32_e32 v8, 64, v2
	s_waitcnt lgkmcnt(0)
	v_add_f32_e32 v6, v5, v6
	v_cndmask_b32_e64 v5, v5, v6, s0
	v_cmp_lt_u32_e64 s0, v7, v4
	ds_bpermute_b32 v6, v8, v5
	s_waitcnt lgkmcnt(0)
	v_add_f32_e32 v6, v5, v6
	v_cndmask_b32_e64 v4, v5, v6, s0
	s_mov_b32 s0, exec_lo
	v_cndmask_b32_e32 v1, v1, v4, vcc_lo
	v_cmpx_eq_u32_e32 0, v3
; %bb.385:
	v_lshrrev_b32_e32 v4, 3, v0
	v_and_b32_e32 v4, 28, v4
	ds_write_b32 v4, v1 offset:192
; %bb.386:
	s_or_b32 exec_lo, exec_lo, s0
	s_mov_b32 s2, exec_lo
	s_waitcnt lgkmcnt(0)
	s_barrier
	buffer_gl0_inv
	v_cmpx_gt_u32_e32 8, v0
	s_cbranch_execz .LBB35_388
; %bb.387:
	ds_read_b32 v1, v2 offset:192
	v_and_b32_e32 v4, 7, v3
	s_add_i32 s1, s1, 31
	v_or_b32_e32 v2, 16, v2
	s_lshr_b32 s1, s1, 5
	v_cmp_ne_u32_e32 vcc_lo, 7, v4
	v_add_nc_u32_e32 v7, 1, v4
	v_add_co_ci_u32_e64 v5, null, 0, v3, vcc_lo
	v_cmp_gt_u32_e32 vcc_lo, 6, v4
	v_lshlrev_b32_e32 v5, 2, v5
	v_cndmask_b32_e64 v6, 0, 2, vcc_lo
	v_cmp_gt_u32_e32 vcc_lo, s1, v7
	s_waitcnt lgkmcnt(0)
	ds_bpermute_b32 v5, v5, v1
	v_add_lshl_u32 v3, v6, v3, 2
	v_add_nc_u32_e32 v6, 2, v4
	v_add_nc_u32_e32 v4, 4, v4
	v_cmp_gt_u32_e64 s0, s1, v6
	s_waitcnt lgkmcnt(0)
	v_add_f32_e32 v5, v1, v5
	v_cndmask_b32_e32 v5, v1, v5, vcc_lo
	ds_bpermute_b32 v3, v3, v5
	s_waitcnt lgkmcnt(0)
	v_add_f32_e32 v3, v5, v3
	v_cndmask_b32_e64 v3, v5, v3, s0
	v_cmp_gt_u32_e64 s0, s1, v4
	ds_bpermute_b32 v2, v2, v3
	s_waitcnt lgkmcnt(0)
	v_add_f32_e32 v2, v3, v2
	v_cndmask_b32_e64 v2, v3, v2, s0
	v_cndmask_b32_e32 v1, v1, v2, vcc_lo
.LBB35_388:
	s_or_b32 exec_lo, exec_lo, s2
.LBB35_389:
	v_cmp_eq_u32_e64 s0, 0, v0
	s_branch .LBB35_474
.LBB35_390:
	s_cmp_gt_i32 s38, 1
	s_cbranch_scc0 .LBB35_407
; %bb.391:
	s_cmp_gt_i32 s38, 3
	s_cbranch_scc0 .LBB35_408
; %bb.392:
	s_cmp_eq_u32 s38, 4
	s_cbranch_scc0 .LBB35_409
; %bb.393:
	s_lshl_b32 s3, s6, 10
	s_mov_b32 s7, 0
	s_lshr_b64 s[0:1], s[40:41], 10
	s_add_i32 s8, s39, s3
	s_cmp_lg_u64 s[0:1], s[6:7]
	s_cbranch_scc0 .LBB35_411
; %bb.394:
	v_add_nc_u32_e32 v2, s8, v0
	s_movk_i32 s2, 0x2710
	v_lshlrev_b32_e32 v1, 12, v2
	v_add3_u32 v1, v2, v1, 0x7ed55d16
	v_lshrrev_b32_e32 v3, 19, v1
	v_xor3_b32 v1, v1, v3, 0xc761c23c
	v_lshl_add_u32 v1, v1, 5, v1
	v_add_nc_u32_e32 v3, 0xe9f8cc1d, v1
	v_lshl_add_u32 v1, v1, 9, 0xaccf6200
	v_xor_b32_e32 v1, v3, v1
	v_lshlrev_b32_e32 v3, 3, v1
	v_add3_u32 v1, v1, v3, 0xfd7046c5
	v_lshrrev_b32_e32 v3, 16, v1
	v_xor3_b32 v1, v1, v3, 0xb55a4f09
	v_mul_hi_u32 v3, v1, 3
	v_sub_nc_u32_e32 v4, v1, v3
	v_lshrrev_b32_e32 v4, 1, v4
	v_add_nc_u32_e32 v3, v4, v3
	v_lshrrev_b32_e32 v3, 30, v3
	v_mul_lo_u32 v3, 0x7fffffff, v3
	v_sub_nc_u32_e32 v1, v1, v3
	v_max_u32_e32 v3, 1, v1
	v_mov_b32_e32 v1, 0
.LBB35_395:                             ; =>This Inner Loop Header: Depth=1
	v_mul_hi_u32 v4, 0xbc8f1391, v3
	s_add_i32 s2, s2, -2
	s_cmp_lg_u32 s2, 0
	v_lshrrev_b32_e32 v4, 15, v4
	v_mul_u32_u24_e32 v5, 0xadc8, v4
	v_mul_u32_u24_e32 v4, 0xd47, v4
	v_sub_nc_u32_e32 v3, v3, v5
	v_xor_b32_e32 v5, 0x7fffffff, v4
	v_sub_nc_u32_e32 v6, 0, v4
	v_mul_lo_u32 v3, 0xbc8f, v3
	v_cmp_lt_u32_e32 vcc_lo, v3, v4
	v_cndmask_b32_e32 v4, v6, v5, vcc_lo
	v_add_nc_u32_e32 v3, v4, v3
	v_mul_hi_u32 v4, 0xbc8f1391, v3
	v_lshrrev_b32_e32 v4, 15, v4
	v_mul_u32_u24_e32 v5, 0xadc8, v4
	v_mul_u32_u24_e32 v4, 0xd47, v4
	v_sub_nc_u32_e32 v5, v3, v5
	v_xor_b32_e32 v6, 0x7fffffff, v4
	v_sub_nc_u32_e32 v7, 0, v4
	v_add_nc_u32_e32 v3, -1, v3
	v_mul_lo_u32 v5, 0xbc8f, v5
	v_cvt_f32_u32_e32 v3, v3
	v_cmp_lt_u32_e32 vcc_lo, v5, v4
	v_cndmask_b32_e32 v4, v7, v6, vcc_lo
	v_add_nc_u32_e32 v4, v4, v5
	v_mul_hi_u32 v5, 0xbc8f1391, v4
	v_lshrrev_b32_e32 v5, 15, v5
	v_mul_u32_u24_e32 v6, 0xadc8, v5
	v_mul_u32_u24_e32 v5, 0xd47, v5
	v_sub_nc_u32_e32 v6, v4, v6
	v_xor_b32_e32 v7, 0x7fffffff, v5
	v_sub_nc_u32_e32 v8, 0, v5
	v_add_nc_u32_e32 v4, -1, v4
	v_mul_lo_u32 v6, 0xbc8f, v6
	v_cvt_f32_u32_e32 v4, v4
	v_fma_f32 v4, 0x30000000, v4, 0
	v_cmp_lt_u32_e32 vcc_lo, v6, v5
	v_mul_f32_e32 v4, v4, v4
	v_cndmask_b32_e32 v5, v8, v7, vcc_lo
	v_fma_f32 v7, 0x30000000, v3, 0
	v_add_nc_u32_e32 v5, v5, v6
	v_fmac_f32_e32 v4, v7, v7
	v_mul_hi_u32 v6, 0xbc8f1391, v5
	v_mul_f32_e32 v7, 0x4f800000, v4
	v_lshrrev_b32_e32 v3, 15, v6
	v_mul_u32_u24_e32 v6, 0xadc8, v3
	v_mul_u32_u24_e32 v3, 0xd47, v3
	v_sub_nc_u32_e32 v6, v5, v6
	v_xor_b32_e32 v8, 0x7fffffff, v3
	v_sub_nc_u32_e32 v9, 0, v3
	v_add_nc_u32_e32 v5, -1, v5
	v_mul_lo_u32 v6, 0xbc8f, v6
	v_cvt_f32_u32_e32 v5, v5
	v_fma_f32 v5, 0x30000000, v5, 0
	v_cmp_lt_u32_e32 vcc_lo, v6, v3
	v_cndmask_b32_e32 v3, v9, v8, vcc_lo
	v_cmp_gt_f32_e32 vcc_lo, 0xf800000, v4
	v_add_f32_e32 v8, 1.0, v1
	v_add_nc_u32_e32 v3, v3, v6
	v_cndmask_b32_e32 v4, v4, v7, vcc_lo
	v_add_nc_u32_e32 v6, -1, v3
	v_cvt_f32_u32_e32 v6, v6
	v_fma_f32 v6, 0x30000000, v6, 0
	v_mul_f32_e32 v6, v6, v6
	v_fmac_f32_e32 v6, v5, v5
	v_sqrt_f32_e32 v5, v4
	v_mul_f32_e32 v7, 0x4f800000, v6
	v_cmp_gt_f32_e64 s0, 0xf800000, v6
	v_cndmask_b32_e64 v6, v6, v7, s0
	v_add_nc_u32_e32 v7, -1, v5
	v_add_nc_u32_e32 v9, 1, v5
	v_sqrt_f32_e32 v10, v6
	v_fma_f32 v11, -v7, v5, v4
	v_fma_f32 v12, -v9, v5, v4
	v_cmp_ge_f32_e64 s1, 0, v11
	v_cndmask_b32_e64 v5, v5, v7, s1
	v_cmp_lt_f32_e64 s1, 0, v12
	v_add_nc_u32_e32 v7, -1, v10
	v_cndmask_b32_e64 v5, v5, v9, s1
	v_add_nc_u32_e32 v9, 1, v10
	v_fma_f32 v11, -v7, v10, v6
	v_mul_f32_e32 v12, 0x37800000, v5
	v_fma_f32 v13, -v9, v10, v6
	v_cmp_ge_f32_e64 s1, 0, v11
	v_cndmask_b32_e32 v5, v5, v12, vcc_lo
	v_cmp_class_f32_e64 vcc_lo, v4, 0x260
	v_cndmask_b32_e64 v7, v10, v7, s1
	v_cmp_lt_f32_e64 s1, 0, v13
	v_cndmask_b32_e32 v4, v5, v4, vcc_lo
	v_cndmask_b32_e64 v7, v7, v9, s1
	v_cmp_nge_f32_e32 vcc_lo, 1.0, v4
	v_mul_f32_e32 v5, 0x37800000, v7
	v_cndmask_b32_e32 v1, v8, v1, vcc_lo
	v_cmp_class_f32_e64 vcc_lo, v6, 0x260
	v_cndmask_b32_e64 v4, v7, v5, s0
	v_add_f32_e32 v5, 1.0, v1
	v_cndmask_b32_e32 v4, v4, v6, vcc_lo
	v_cmp_nge_f32_e32 vcc_lo, 1.0, v4
	v_cndmask_b32_e32 v1, v5, v1, vcc_lo
	s_cbranch_scc1 .LBB35_395
; %bb.396:
	v_lshl_add_u32 v3, v2, 12, v2
	s_movk_i32 s2, 0x2710
	v_add_nc_u32_e32 v2, 0x7ee55e16, v3
	v_lshrrev_b32_e32 v4, 19, v2
	v_xor3_b32 v2, v2, v4, 0xc761c23c
	v_lshl_add_u32 v2, v2, 5, v2
	v_add_nc_u32_e32 v4, 0xe9f8cc1d, v2
	v_lshl_add_u32 v2, v2, 9, 0xaccf6200
	v_xor_b32_e32 v2, v4, v2
	v_lshlrev_b32_e32 v4, 3, v2
	v_add3_u32 v2, v2, v4, 0xfd7046c5
	v_lshrrev_b32_e32 v4, 16, v2
	v_xor3_b32 v2, v2, v4, 0xb55a4f09
	v_mul_hi_u32 v4, v2, 3
	v_sub_nc_u32_e32 v5, v2, v4
	v_lshrrev_b32_e32 v5, 1, v5
	v_add_nc_u32_e32 v4, v5, v4
	v_lshrrev_b32_e32 v4, 30, v4
	v_mul_lo_u32 v4, 0x7fffffff, v4
	v_sub_nc_u32_e32 v2, v2, v4
	v_max_u32_e32 v4, 1, v2
	v_mov_b32_e32 v2, 0
.LBB35_397:                             ; =>This Inner Loop Header: Depth=1
	v_mul_hi_u32 v5, 0xbc8f1391, v4
	s_add_i32 s2, s2, -2
	s_cmp_lg_u32 s2, 0
	v_lshrrev_b32_e32 v5, 15, v5
	v_mul_u32_u24_e32 v6, 0xadc8, v5
	v_mul_u32_u24_e32 v5, 0xd47, v5
	v_sub_nc_u32_e32 v4, v4, v6
	v_xor_b32_e32 v6, 0x7fffffff, v5
	v_sub_nc_u32_e32 v7, 0, v5
	v_mul_lo_u32 v4, 0xbc8f, v4
	v_cmp_lt_u32_e32 vcc_lo, v4, v5
	v_cndmask_b32_e32 v5, v7, v6, vcc_lo
	v_add_nc_u32_e32 v4, v5, v4
	v_mul_hi_u32 v5, 0xbc8f1391, v4
	v_lshrrev_b32_e32 v5, 15, v5
	v_mul_u32_u24_e32 v6, 0xadc8, v5
	v_mul_u32_u24_e32 v5, 0xd47, v5
	v_sub_nc_u32_e32 v6, v4, v6
	v_xor_b32_e32 v7, 0x7fffffff, v5
	v_sub_nc_u32_e32 v8, 0, v5
	v_add_nc_u32_e32 v4, -1, v4
	v_mul_lo_u32 v6, 0xbc8f, v6
	v_cvt_f32_u32_e32 v4, v4
	v_cmp_lt_u32_e32 vcc_lo, v6, v5
	v_cndmask_b32_e32 v5, v8, v7, vcc_lo
	v_add_nc_u32_e32 v5, v5, v6
	v_mul_hi_u32 v6, 0xbc8f1391, v5
	v_lshrrev_b32_e32 v6, 15, v6
	v_mul_u32_u24_e32 v7, 0xadc8, v6
	v_mul_u32_u24_e32 v6, 0xd47, v6
	v_sub_nc_u32_e32 v7, v5, v7
	v_xor_b32_e32 v8, 0x7fffffff, v6
	v_sub_nc_u32_e32 v9, 0, v6
	v_add_nc_u32_e32 v5, -1, v5
	v_mul_lo_u32 v7, 0xbc8f, v7
	v_cvt_f32_u32_e32 v5, v5
	v_fma_f32 v5, 0x30000000, v5, 0
	v_cmp_lt_u32_e32 vcc_lo, v7, v6
	v_mul_f32_e32 v5, v5, v5
	v_cndmask_b32_e32 v6, v9, v8, vcc_lo
	v_fma_f32 v8, 0x30000000, v4, 0
	v_add_nc_u32_e32 v6, v6, v7
	v_fmac_f32_e32 v5, v8, v8
	v_mul_hi_u32 v7, 0xbc8f1391, v6
	v_mul_f32_e32 v8, 0x4f800000, v5
	v_lshrrev_b32_e32 v4, 15, v7
	v_mul_u32_u24_e32 v7, 0xadc8, v4
	v_mul_u32_u24_e32 v4, 0xd47, v4
	v_sub_nc_u32_e32 v7, v6, v7
	v_xor_b32_e32 v9, 0x7fffffff, v4
	v_sub_nc_u32_e32 v10, 0, v4
	v_add_nc_u32_e32 v6, -1, v6
	v_mul_lo_u32 v7, 0xbc8f, v7
	v_cvt_f32_u32_e32 v6, v6
	v_fma_f32 v6, 0x30000000, v6, 0
	v_cmp_lt_u32_e32 vcc_lo, v7, v4
	v_cndmask_b32_e32 v4, v10, v9, vcc_lo
	v_cmp_gt_f32_e32 vcc_lo, 0xf800000, v5
	v_add_f32_e32 v9, 1.0, v2
	v_add_nc_u32_e32 v4, v4, v7
	v_cndmask_b32_e32 v5, v5, v8, vcc_lo
	v_add_nc_u32_e32 v7, -1, v4
	v_cvt_f32_u32_e32 v7, v7
	v_fma_f32 v7, 0x30000000, v7, 0
	v_mul_f32_e32 v7, v7, v7
	v_fmac_f32_e32 v7, v6, v6
	v_sqrt_f32_e32 v6, v5
	v_mul_f32_e32 v8, 0x4f800000, v7
	v_cmp_gt_f32_e64 s0, 0xf800000, v7
	v_cndmask_b32_e64 v7, v7, v8, s0
	v_add_nc_u32_e32 v8, -1, v6
	v_add_nc_u32_e32 v10, 1, v6
	v_sqrt_f32_e32 v11, v7
	v_fma_f32 v12, -v8, v6, v5
	v_fma_f32 v13, -v10, v6, v5
	v_cmp_ge_f32_e64 s1, 0, v12
	v_cndmask_b32_e64 v6, v6, v8, s1
	v_cmp_lt_f32_e64 s1, 0, v13
	v_add_nc_u32_e32 v8, -1, v11
	v_cndmask_b32_e64 v6, v6, v10, s1
	v_add_nc_u32_e32 v10, 1, v11
	v_fma_f32 v12, -v8, v11, v7
	v_mul_f32_e32 v13, 0x37800000, v6
	v_fma_f32 v14, -v10, v11, v7
	v_cmp_ge_f32_e64 s1, 0, v12
	v_cndmask_b32_e32 v6, v6, v13, vcc_lo
	v_cmp_class_f32_e64 vcc_lo, v5, 0x260
	v_cndmask_b32_e64 v8, v11, v8, s1
	v_cmp_lt_f32_e64 s1, 0, v14
	v_cndmask_b32_e32 v5, v6, v5, vcc_lo
	v_cndmask_b32_e64 v8, v8, v10, s1
	v_cmp_nge_f32_e32 vcc_lo, 1.0, v5
	v_mul_f32_e32 v6, 0x37800000, v8
	v_cndmask_b32_e32 v2, v9, v2, vcc_lo
	v_cmp_class_f32_e64 vcc_lo, v7, 0x260
	v_cndmask_b32_e64 v5, v8, v6, s0
	v_add_f32_e32 v6, 1.0, v2
	v_cndmask_b32_e32 v5, v5, v7, vcc_lo
	v_cmp_nge_f32_e32 vcc_lo, 1.0, v5
	v_cndmask_b32_e32 v2, v6, v2, vcc_lo
	s_cbranch_scc1 .LBB35_397
; %bb.398:
	v_add_nc_u32_e32 v4, 0x7ef55f16, v3
	s_movk_i32 s2, 0x2710
	v_lshrrev_b32_e32 v5, 19, v4
	v_xor3_b32 v4, v4, v5, 0xc761c23c
	v_lshl_add_u32 v4, v4, 5, v4
	v_add_nc_u32_e32 v5, 0xe9f8cc1d, v4
	v_lshl_add_u32 v4, v4, 9, 0xaccf6200
	v_xor_b32_e32 v4, v5, v4
	v_lshlrev_b32_e32 v5, 3, v4
	v_add3_u32 v4, v4, v5, 0xfd7046c5
	v_lshrrev_b32_e32 v5, 16, v4
	v_xor3_b32 v4, v4, v5, 0xb55a4f09
	v_mul_hi_u32 v5, v4, 3
	v_sub_nc_u32_e32 v6, v4, v5
	v_lshrrev_b32_e32 v6, 1, v6
	v_add_nc_u32_e32 v5, v6, v5
	v_lshrrev_b32_e32 v5, 30, v5
	v_mul_lo_u32 v5, 0x7fffffff, v5
	v_sub_nc_u32_e32 v4, v4, v5
	v_max_u32_e32 v5, 1, v4
	v_mov_b32_e32 v4, 0
.LBB35_399:                             ; =>This Inner Loop Header: Depth=1
	v_mul_hi_u32 v6, 0xbc8f1391, v5
	s_add_i32 s2, s2, -2
	s_cmp_lg_u32 s2, 0
	v_lshrrev_b32_e32 v6, 15, v6
	v_mul_u32_u24_e32 v7, 0xadc8, v6
	v_mul_u32_u24_e32 v6, 0xd47, v6
	v_sub_nc_u32_e32 v5, v5, v7
	v_xor_b32_e32 v7, 0x7fffffff, v6
	v_sub_nc_u32_e32 v8, 0, v6
	v_mul_lo_u32 v5, 0xbc8f, v5
	v_cmp_lt_u32_e32 vcc_lo, v5, v6
	v_cndmask_b32_e32 v6, v8, v7, vcc_lo
	v_add_nc_u32_e32 v5, v6, v5
	v_mul_hi_u32 v6, 0xbc8f1391, v5
	v_lshrrev_b32_e32 v6, 15, v6
	v_mul_u32_u24_e32 v7, 0xadc8, v6
	v_mul_u32_u24_e32 v6, 0xd47, v6
	v_sub_nc_u32_e32 v7, v5, v7
	v_xor_b32_e32 v8, 0x7fffffff, v6
	v_sub_nc_u32_e32 v9, 0, v6
	v_add_nc_u32_e32 v5, -1, v5
	v_mul_lo_u32 v7, 0xbc8f, v7
	v_cvt_f32_u32_e32 v5, v5
	v_cmp_lt_u32_e32 vcc_lo, v7, v6
	v_cndmask_b32_e32 v6, v9, v8, vcc_lo
	v_add_nc_u32_e32 v6, v6, v7
	v_mul_hi_u32 v7, 0xbc8f1391, v6
	v_lshrrev_b32_e32 v7, 15, v7
	v_mul_u32_u24_e32 v8, 0xadc8, v7
	v_mul_u32_u24_e32 v7, 0xd47, v7
	v_sub_nc_u32_e32 v8, v6, v8
	v_xor_b32_e32 v9, 0x7fffffff, v7
	v_sub_nc_u32_e32 v10, 0, v7
	v_add_nc_u32_e32 v6, -1, v6
	v_mul_lo_u32 v8, 0xbc8f, v8
	v_cvt_f32_u32_e32 v6, v6
	v_fma_f32 v6, 0x30000000, v6, 0
	v_cmp_lt_u32_e32 vcc_lo, v8, v7
	v_mul_f32_e32 v6, v6, v6
	v_cndmask_b32_e32 v7, v10, v9, vcc_lo
	v_fma_f32 v9, 0x30000000, v5, 0
	v_add_nc_u32_e32 v7, v7, v8
	v_fmac_f32_e32 v6, v9, v9
	v_mul_hi_u32 v8, 0xbc8f1391, v7
	v_mul_f32_e32 v9, 0x4f800000, v6
	v_lshrrev_b32_e32 v5, 15, v8
	v_mul_u32_u24_e32 v8, 0xadc8, v5
	v_mul_u32_u24_e32 v5, 0xd47, v5
	v_sub_nc_u32_e32 v8, v7, v8
	v_xor_b32_e32 v10, 0x7fffffff, v5
	v_sub_nc_u32_e32 v11, 0, v5
	v_add_nc_u32_e32 v7, -1, v7
	v_mul_lo_u32 v8, 0xbc8f, v8
	v_cvt_f32_u32_e32 v7, v7
	v_fma_f32 v7, 0x30000000, v7, 0
	v_cmp_lt_u32_e32 vcc_lo, v8, v5
	v_cndmask_b32_e32 v5, v11, v10, vcc_lo
	v_cmp_gt_f32_e32 vcc_lo, 0xf800000, v6
	v_add_f32_e32 v10, 1.0, v4
	v_add_nc_u32_e32 v5, v5, v8
	v_cndmask_b32_e32 v6, v6, v9, vcc_lo
	v_add_nc_u32_e32 v8, -1, v5
	v_cvt_f32_u32_e32 v8, v8
	v_fma_f32 v8, 0x30000000, v8, 0
	v_mul_f32_e32 v8, v8, v8
	v_fmac_f32_e32 v8, v7, v7
	v_sqrt_f32_e32 v7, v6
	v_mul_f32_e32 v9, 0x4f800000, v8
	v_cmp_gt_f32_e64 s0, 0xf800000, v8
	v_cndmask_b32_e64 v8, v8, v9, s0
	v_add_nc_u32_e32 v9, -1, v7
	v_add_nc_u32_e32 v11, 1, v7
	v_sqrt_f32_e32 v12, v8
	v_fma_f32 v13, -v9, v7, v6
	v_fma_f32 v14, -v11, v7, v6
	v_cmp_ge_f32_e64 s1, 0, v13
	v_cndmask_b32_e64 v7, v7, v9, s1
	v_cmp_lt_f32_e64 s1, 0, v14
	v_add_nc_u32_e32 v9, -1, v12
	v_cndmask_b32_e64 v7, v7, v11, s1
	v_add_nc_u32_e32 v11, 1, v12
	v_fma_f32 v13, -v9, v12, v8
	v_mul_f32_e32 v14, 0x37800000, v7
	v_fma_f32 v15, -v11, v12, v8
	v_cmp_ge_f32_e64 s1, 0, v13
	v_cndmask_b32_e32 v7, v7, v14, vcc_lo
	v_cmp_class_f32_e64 vcc_lo, v6, 0x260
	v_cndmask_b32_e64 v9, v12, v9, s1
	v_cmp_lt_f32_e64 s1, 0, v15
	v_cndmask_b32_e32 v6, v7, v6, vcc_lo
	v_cndmask_b32_e64 v9, v9, v11, s1
	v_cmp_nge_f32_e32 vcc_lo, 1.0, v6
	v_mul_f32_e32 v7, 0x37800000, v9
	v_cndmask_b32_e32 v4, v10, v4, vcc_lo
	v_cmp_class_f32_e64 vcc_lo, v8, 0x260
	v_cndmask_b32_e64 v6, v9, v7, s0
	v_add_f32_e32 v7, 1.0, v4
	v_cndmask_b32_e32 v6, v6, v8, vcc_lo
	v_cmp_nge_f32_e32 vcc_lo, 1.0, v6
	v_cndmask_b32_e32 v4, v7, v4, vcc_lo
	s_cbranch_scc1 .LBB35_399
; %bb.400:
	v_add_nc_u32_e32 v3, 0x7f056016, v3
	s_movk_i32 s2, 0x2710
	v_lshrrev_b32_e32 v5, 19, v3
	v_xor3_b32 v3, v3, v5, 0xc761c23c
	v_lshl_add_u32 v3, v3, 5, v3
	v_add_nc_u32_e32 v5, 0xe9f8cc1d, v3
	v_lshl_add_u32 v3, v3, 9, 0xaccf6200
	v_xor_b32_e32 v3, v5, v3
	v_lshlrev_b32_e32 v5, 3, v3
	v_add3_u32 v3, v3, v5, 0xfd7046c5
	v_lshrrev_b32_e32 v5, 16, v3
	v_xor3_b32 v3, v3, v5, 0xb55a4f09
	v_mul_hi_u32 v5, v3, 3
	v_sub_nc_u32_e32 v6, v3, v5
	v_lshrrev_b32_e32 v6, 1, v6
	v_add_nc_u32_e32 v5, v6, v5
	v_lshrrev_b32_e32 v5, 30, v5
	v_mul_lo_u32 v5, 0x7fffffff, v5
	v_sub_nc_u32_e32 v3, v3, v5
	v_max_u32_e32 v5, 1, v3
	v_mov_b32_e32 v3, 0
.LBB35_401:                             ; =>This Inner Loop Header: Depth=1
	v_mul_hi_u32 v6, 0xbc8f1391, v5
	s_add_i32 s2, s2, -2
	s_cmp_lg_u32 s2, 0
	v_lshrrev_b32_e32 v6, 15, v6
	v_mul_u32_u24_e32 v7, 0xadc8, v6
	v_mul_u32_u24_e32 v6, 0xd47, v6
	v_sub_nc_u32_e32 v5, v5, v7
	v_xor_b32_e32 v7, 0x7fffffff, v6
	v_sub_nc_u32_e32 v8, 0, v6
	v_mul_lo_u32 v5, 0xbc8f, v5
	v_cmp_lt_u32_e32 vcc_lo, v5, v6
	v_cndmask_b32_e32 v6, v8, v7, vcc_lo
	v_add_nc_u32_e32 v5, v6, v5
	v_mul_hi_u32 v6, 0xbc8f1391, v5
	v_lshrrev_b32_e32 v6, 15, v6
	v_mul_u32_u24_e32 v7, 0xadc8, v6
	v_mul_u32_u24_e32 v6, 0xd47, v6
	v_sub_nc_u32_e32 v7, v5, v7
	v_xor_b32_e32 v8, 0x7fffffff, v6
	v_sub_nc_u32_e32 v9, 0, v6
	v_add_nc_u32_e32 v5, -1, v5
	v_mul_lo_u32 v7, 0xbc8f, v7
	v_cvt_f32_u32_e32 v5, v5
	v_cmp_lt_u32_e32 vcc_lo, v7, v6
	v_cndmask_b32_e32 v6, v9, v8, vcc_lo
	v_add_nc_u32_e32 v6, v6, v7
	v_mul_hi_u32 v7, 0xbc8f1391, v6
	v_lshrrev_b32_e32 v7, 15, v7
	v_mul_u32_u24_e32 v8, 0xadc8, v7
	v_mul_u32_u24_e32 v7, 0xd47, v7
	v_sub_nc_u32_e32 v8, v6, v8
	v_xor_b32_e32 v9, 0x7fffffff, v7
	v_sub_nc_u32_e32 v10, 0, v7
	v_add_nc_u32_e32 v6, -1, v6
	v_mul_lo_u32 v8, 0xbc8f, v8
	v_cvt_f32_u32_e32 v6, v6
	v_fma_f32 v6, 0x30000000, v6, 0
	v_cmp_lt_u32_e32 vcc_lo, v8, v7
	v_mul_f32_e32 v6, v6, v6
	v_cndmask_b32_e32 v7, v10, v9, vcc_lo
	v_fma_f32 v9, 0x30000000, v5, 0
	v_add_nc_u32_e32 v7, v7, v8
	v_fmac_f32_e32 v6, v9, v9
	v_mul_hi_u32 v8, 0xbc8f1391, v7
	v_mul_f32_e32 v9, 0x4f800000, v6
	v_lshrrev_b32_e32 v5, 15, v8
	v_mul_u32_u24_e32 v8, 0xadc8, v5
	v_mul_u32_u24_e32 v5, 0xd47, v5
	v_sub_nc_u32_e32 v8, v7, v8
	v_xor_b32_e32 v10, 0x7fffffff, v5
	v_sub_nc_u32_e32 v11, 0, v5
	v_add_nc_u32_e32 v7, -1, v7
	v_mul_lo_u32 v8, 0xbc8f, v8
	v_cvt_f32_u32_e32 v7, v7
	v_fma_f32 v7, 0x30000000, v7, 0
	v_cmp_lt_u32_e32 vcc_lo, v8, v5
	v_cndmask_b32_e32 v5, v11, v10, vcc_lo
	v_cmp_gt_f32_e32 vcc_lo, 0xf800000, v6
	v_add_f32_e32 v10, 1.0, v3
	v_add_nc_u32_e32 v5, v5, v8
	v_cndmask_b32_e32 v6, v6, v9, vcc_lo
	v_add_nc_u32_e32 v8, -1, v5
	v_cvt_f32_u32_e32 v8, v8
	v_fma_f32 v8, 0x30000000, v8, 0
	v_mul_f32_e32 v8, v8, v8
	v_fmac_f32_e32 v8, v7, v7
	v_sqrt_f32_e32 v7, v6
	v_mul_f32_e32 v9, 0x4f800000, v8
	v_cmp_gt_f32_e64 s0, 0xf800000, v8
	v_cndmask_b32_e64 v8, v8, v9, s0
	v_add_nc_u32_e32 v9, -1, v7
	v_add_nc_u32_e32 v11, 1, v7
	v_sqrt_f32_e32 v12, v8
	v_fma_f32 v13, -v9, v7, v6
	v_fma_f32 v14, -v11, v7, v6
	v_cmp_ge_f32_e64 s1, 0, v13
	v_cndmask_b32_e64 v7, v7, v9, s1
	v_cmp_lt_f32_e64 s1, 0, v14
	v_add_nc_u32_e32 v9, -1, v12
	v_cndmask_b32_e64 v7, v7, v11, s1
	v_add_nc_u32_e32 v11, 1, v12
	v_fma_f32 v13, -v9, v12, v8
	v_mul_f32_e32 v14, 0x37800000, v7
	v_fma_f32 v15, -v11, v12, v8
	v_cmp_ge_f32_e64 s1, 0, v13
	v_cndmask_b32_e32 v7, v7, v14, vcc_lo
	v_cmp_class_f32_e64 vcc_lo, v6, 0x260
	v_cndmask_b32_e64 v9, v12, v9, s1
	v_cmp_lt_f32_e64 s1, 0, v15
	v_cndmask_b32_e32 v6, v7, v6, vcc_lo
	v_cndmask_b32_e64 v9, v9, v11, s1
	v_cmp_nge_f32_e32 vcc_lo, 1.0, v6
	v_mul_f32_e32 v7, 0x37800000, v9
	v_cndmask_b32_e32 v3, v10, v3, vcc_lo
	v_cmp_class_f32_e64 vcc_lo, v8, 0x260
	v_cndmask_b32_e64 v6, v9, v7, s0
	v_add_f32_e32 v7, 1.0, v3
	v_cndmask_b32_e32 v6, v6, v8, vcc_lo
	v_cmp_nge_f32_e32 vcc_lo, 1.0, v6
	v_cndmask_b32_e32 v3, v7, v3, vcc_lo
	s_cbranch_scc1 .LBB35_401
; %bb.402:
	v_mul_f32_e32 v1, 4.0, v1
	v_mul_f32_e32 v2, 4.0, v2
	;; [unrolled: 1-line block ×4, first 2 shown]
	v_div_scale_f32 v5, null, 0x461c4000, 0x461c4000, v1
	v_div_scale_f32 v6, null, 0x461c4000, 0x461c4000, v2
	;; [unrolled: 1-line block ×3, first 2 shown]
	v_rcp_f32_e32 v8, v5
	v_div_scale_f32 v9, null, 0x461c4000, 0x461c4000, v3
	v_rcp_f32_e32 v10, v6
	v_rcp_f32_e32 v11, v7
	v_div_scale_f32 v13, vcc_lo, v1, 0x461c4000, v1
	v_rcp_f32_e32 v12, v9
	v_div_scale_f32 v17, s0, v2, 0x461c4000, v2
	v_fma_f32 v14, -v5, v8, 1.0
	v_fma_f32 v15, -v6, v10, 1.0
	;; [unrolled: 1-line block ×3, first 2 shown]
	v_fmac_f32_e32 v8, v14, v8
	v_div_scale_f32 v14, s1, v4, 0x461c4000, v4
	v_fma_f32 v18, -v9, v12, 1.0
	v_fmac_f32_e32 v10, v15, v10
	v_fmac_f32_e32 v11, v16, v11
	v_mul_f32_e32 v16, v13, v8
	v_div_scale_f32 v15, s2, v3, 0x461c4000, v3
	v_fmac_f32_e32 v12, v18, v12
	v_mul_f32_e32 v18, v17, v10
	v_fma_f32 v21, -v5, v16, v13
	v_mul_f32_e32 v19, v14, v11
	v_mul_f32_e32 v20, v15, v12
	v_fma_f32 v22, -v6, v18, v17
	v_fmac_f32_e32 v16, v21, v8
	v_fma_f32 v23, -v7, v19, v14
	v_fma_f32 v24, -v9, v20, v15
	v_fmac_f32_e32 v18, v22, v10
	v_fma_f32 v5, -v5, v16, v13
	v_fmac_f32_e32 v19, v23, v11
	v_fmac_f32_e32 v20, v24, v12
	v_fma_f32 v6, -v6, v18, v17
	v_div_fmas_f32 v5, v5, v8, v16
	s_mov_b32 vcc_lo, s0
	v_fma_f32 v7, -v7, v19, v14
	v_fma_f32 v9, -v9, v20, v15
	v_div_fmas_f32 v6, v6, v10, v18
	s_mov_b32 vcc_lo, s1
	v_div_fixup_f32 v1, v5, 0x461c4000, v1
	v_div_fmas_f32 v7, v7, v11, v19
	s_mov_b32 vcc_lo, s2
	v_div_fixup_f32 v2, v6, 0x461c4000, v2
	v_div_fmas_f32 v5, v9, v12, v20
	s_mov_b32 s0, exec_lo
	v_div_fixup_f32 v4, v7, 0x461c4000, v4
	v_add_f32_e32 v1, v1, v2
	v_div_fixup_f32 v2, v5, 0x461c4000, v3
	v_add_f32_e32 v1, v1, v4
	v_add_f32_e32 v1, v1, v2
	v_mov_b32_dpp v2, v1 quad_perm:[1,0,3,2] row_mask:0xf bank_mask:0xf
	v_add_f32_e32 v1, v1, v2
	v_mov_b32_dpp v2, v1 quad_perm:[2,3,0,1] row_mask:0xf bank_mask:0xf
	v_add_f32_e32 v1, v1, v2
	v_mov_b32_dpp v2, v1 row_ror:4 row_mask:0xf bank_mask:0xf
	v_add_f32_e32 v1, v1, v2
	v_mov_b32_dpp v2, v1 row_ror:8 row_mask:0xf bank_mask:0xf
	v_add_f32_e32 v1, v1, v2
	ds_swizzle_b32 v2, v1 offset:swizzle(BROADCAST,32,15)
	s_waitcnt lgkmcnt(0)
	v_add_f32_e32 v1, v1, v2
	v_mov_b32_e32 v2, 0
	ds_bpermute_b32 v1, v2, v1 offset:124
	v_mbcnt_lo_u32_b32 v2, -1, 0
	v_cmpx_eq_u32_e32 0, v2
	s_cbranch_execz .LBB35_404
; %bb.403:
	v_lshrrev_b32_e32 v3, 3, v0
	v_and_b32_e32 v3, 28, v3
	s_waitcnt lgkmcnt(0)
	ds_write_b32 v3, v1 offset:128
.LBB35_404:
	s_or_b32 exec_lo, exec_lo, s0
	s_mov_b32 s0, exec_lo
	s_waitcnt lgkmcnt(0)
	s_barrier
	buffer_gl0_inv
	v_cmpx_gt_u32_e32 32, v0
	s_cbranch_execz .LBB35_406
; %bb.405:
	v_and_b32_e32 v1, 7, v2
	v_lshlrev_b32_e32 v3, 2, v1
	v_cmp_ne_u32_e32 vcc_lo, 7, v1
	ds_read_b32 v3, v3 offset:128
	v_add_co_ci_u32_e64 v4, null, 0, v2, vcc_lo
	v_cmp_gt_u32_e32 vcc_lo, 6, v1
	v_lshlrev_b32_e32 v4, 2, v4
	v_cndmask_b32_e64 v1, 0, 2, vcc_lo
	v_add_lshl_u32 v1, v1, v2, 2
	v_lshlrev_b32_e32 v2, 2, v2
	v_or_b32_e32 v2, 16, v2
	s_waitcnt lgkmcnt(0)
	ds_bpermute_b32 v4, v4, v3
	s_waitcnt lgkmcnt(0)
	v_add_f32_e32 v3, v3, v4
	ds_bpermute_b32 v1, v1, v3
	s_waitcnt lgkmcnt(0)
	v_add_f32_e32 v1, v3, v1
	;; [unrolled: 3-line block ×3, first 2 shown]
.LBB35_406:
	s_or_b32 exec_lo, exec_lo, s0
	s_mov_b32 s0, 0
	s_branch .LBB35_412
.LBB35_407:
                                        ; implicit-def: $vgpr1
	s_cbranch_execnz .LBB35_463
	s_branch .LBB35_474
.LBB35_408:
                                        ; implicit-def: $vgpr1
	s_cbranch_execz .LBB35_410
	s_branch .LBB35_435
.LBB35_409:
                                        ; implicit-def: $vgpr1
.LBB35_410:
	s_branch .LBB35_474
.LBB35_411:
	s_mov_b32 s0, -1
                                        ; implicit-def: $vgpr1
.LBB35_412:
	s_and_b32 vcc_lo, exec_lo, s0
	s_cbranch_vccz .LBB35_434
; %bb.413:
	v_mov_b32_e32 v1, 0
	s_sub_i32 s9, s40, s3
	s_mov_b32 s2, exec_lo
	v_mov_b32_e32 v3, v1
	v_mov_b32_e32 v4, v1
	;; [unrolled: 1-line block ×3, first 2 shown]
	v_cmpx_gt_u32_e64 s9, v0
	s_cbranch_execz .LBB35_417
; %bb.414:
	v_add_nc_u32_e32 v2, s8, v0
	s_movk_i32 s3, 0x2710
	v_lshlrev_b32_e32 v3, 12, v2
	v_add3_u32 v2, v2, v3, 0x7ed55d16
	v_lshrrev_b32_e32 v3, 19, v2
	v_xor3_b32 v2, v2, v3, 0xc761c23c
	v_lshl_add_u32 v2, v2, 5, v2
	v_add_nc_u32_e32 v3, 0xe9f8cc1d, v2
	v_lshl_add_u32 v2, v2, 9, 0xaccf6200
	v_xor_b32_e32 v2, v3, v2
	v_lshlrev_b32_e32 v3, 3, v2
	v_add3_u32 v2, v2, v3, 0xfd7046c5
	v_lshrrev_b32_e32 v3, 16, v2
	v_xor3_b32 v2, v2, v3, 0xb55a4f09
	v_mul_hi_u32 v3, v2, 3
	v_sub_nc_u32_e32 v4, v2, v3
	v_lshrrev_b32_e32 v4, 1, v4
	v_add_nc_u32_e32 v3, v4, v3
	v_lshrrev_b32_e32 v3, 30, v3
	v_mul_lo_u32 v3, 0x7fffffff, v3
	v_sub_nc_u32_e32 v2, v2, v3
	v_max_u32_e32 v2, 1, v2
.LBB35_415:                             ; =>This Inner Loop Header: Depth=1
	v_mul_hi_u32 v3, 0xbc8f1391, v2
	s_add_i32 s3, s3, -2
	s_cmp_lg_u32 s3, 0
	v_lshrrev_b32_e32 v3, 15, v3
	v_mul_u32_u24_e32 v4, 0xadc8, v3
	v_mul_u32_u24_e32 v3, 0xd47, v3
	v_sub_nc_u32_e32 v2, v2, v4
	v_xor_b32_e32 v4, 0x7fffffff, v3
	v_sub_nc_u32_e32 v5, 0, v3
	v_mul_lo_u32 v2, 0xbc8f, v2
	v_cmp_lt_u32_e32 vcc_lo, v2, v3
	v_cndmask_b32_e32 v3, v5, v4, vcc_lo
	v_add_nc_u32_e32 v2, v3, v2
	v_mul_hi_u32 v3, 0xbc8f1391, v2
	v_lshrrev_b32_e32 v3, 15, v3
	v_mul_u32_u24_e32 v4, 0xadc8, v3
	v_mul_u32_u24_e32 v3, 0xd47, v3
	v_sub_nc_u32_e32 v4, v2, v4
	v_xor_b32_e32 v5, 0x7fffffff, v3
	v_sub_nc_u32_e32 v6, 0, v3
	v_add_nc_u32_e32 v2, -1, v2
	v_mul_lo_u32 v4, 0xbc8f, v4
	v_cvt_f32_u32_e32 v2, v2
	v_cmp_lt_u32_e32 vcc_lo, v4, v3
	v_cndmask_b32_e32 v3, v6, v5, vcc_lo
	v_add_nc_u32_e32 v3, v3, v4
	v_mul_hi_u32 v4, 0xbc8f1391, v3
	v_lshrrev_b32_e32 v4, 15, v4
	v_mul_u32_u24_e32 v5, 0xadc8, v4
	v_mul_u32_u24_e32 v4, 0xd47, v4
	v_sub_nc_u32_e32 v5, v3, v5
	v_xor_b32_e32 v6, 0x7fffffff, v4
	v_sub_nc_u32_e32 v7, 0, v4
	v_add_nc_u32_e32 v3, -1, v3
	v_mul_lo_u32 v5, 0xbc8f, v5
	v_cvt_f32_u32_e32 v3, v3
	v_fma_f32 v3, 0x30000000, v3, 0
	v_cmp_lt_u32_e32 vcc_lo, v5, v4
	v_mul_f32_e32 v3, v3, v3
	v_cndmask_b32_e32 v4, v7, v6, vcc_lo
	v_fma_f32 v6, 0x30000000, v2, 0
	v_add_nc_u32_e32 v4, v4, v5
	v_fmac_f32_e32 v3, v6, v6
	v_mul_hi_u32 v5, 0xbc8f1391, v4
	v_mul_f32_e32 v6, 0x4f800000, v3
	v_lshrrev_b32_e32 v2, 15, v5
	v_mul_u32_u24_e32 v5, 0xadc8, v2
	v_mul_u32_u24_e32 v2, 0xd47, v2
	v_sub_nc_u32_e32 v5, v4, v5
	v_xor_b32_e32 v7, 0x7fffffff, v2
	v_sub_nc_u32_e32 v8, 0, v2
	v_add_nc_u32_e32 v4, -1, v4
	v_mul_lo_u32 v5, 0xbc8f, v5
	v_cvt_f32_u32_e32 v4, v4
	v_fma_f32 v4, 0x30000000, v4, 0
	v_cmp_lt_u32_e32 vcc_lo, v5, v2
	v_cndmask_b32_e32 v2, v8, v7, vcc_lo
	v_cmp_gt_f32_e32 vcc_lo, 0xf800000, v3
	v_add_f32_e32 v7, 1.0, v1
	v_add_nc_u32_e32 v2, v2, v5
	v_cndmask_b32_e32 v3, v3, v6, vcc_lo
	v_add_nc_u32_e32 v5, -1, v2
	v_cvt_f32_u32_e32 v5, v5
	v_fma_f32 v5, 0x30000000, v5, 0
	v_mul_f32_e32 v5, v5, v5
	v_fmac_f32_e32 v5, v4, v4
	v_sqrt_f32_e32 v4, v3
	v_mul_f32_e32 v6, 0x4f800000, v5
	v_cmp_gt_f32_e64 s0, 0xf800000, v5
	v_cndmask_b32_e64 v5, v5, v6, s0
	v_add_nc_u32_e32 v6, -1, v4
	v_add_nc_u32_e32 v8, 1, v4
	v_sqrt_f32_e32 v9, v5
	v_fma_f32 v10, -v6, v4, v3
	v_fma_f32 v11, -v8, v4, v3
	v_cmp_ge_f32_e64 s1, 0, v10
	v_cndmask_b32_e64 v4, v4, v6, s1
	v_cmp_lt_f32_e64 s1, 0, v11
	v_add_nc_u32_e32 v6, -1, v9
	v_cndmask_b32_e64 v4, v4, v8, s1
	v_add_nc_u32_e32 v8, 1, v9
	v_fma_f32 v10, -v6, v9, v5
	v_mul_f32_e32 v11, 0x37800000, v4
	v_fma_f32 v12, -v8, v9, v5
	v_cmp_ge_f32_e64 s1, 0, v10
	v_cndmask_b32_e32 v4, v4, v11, vcc_lo
	v_cmp_class_f32_e64 vcc_lo, v3, 0x260
	v_cndmask_b32_e64 v6, v9, v6, s1
	v_cmp_lt_f32_e64 s1, 0, v12
	v_cndmask_b32_e32 v3, v4, v3, vcc_lo
	v_cndmask_b32_e64 v6, v6, v8, s1
	v_cmp_nge_f32_e32 vcc_lo, 1.0, v3
	v_mul_f32_e32 v4, 0x37800000, v6
	v_cndmask_b32_e32 v1, v7, v1, vcc_lo
	v_cmp_class_f32_e64 vcc_lo, v5, 0x260
	v_cndmask_b32_e64 v3, v6, v4, s0
	v_add_f32_e32 v4, 1.0, v1
	v_cndmask_b32_e32 v3, v3, v5, vcc_lo
	v_cmp_nge_f32_e32 vcc_lo, 1.0, v3
	v_cndmask_b32_e32 v1, v4, v1, vcc_lo
	s_cbranch_scc1 .LBB35_415
; %bb.416:
	v_mul_f32_e32 v1, 4.0, v1
	v_div_scale_f32 v2, null, 0x461c4000, 0x461c4000, v1
	v_div_scale_f32 v5, vcc_lo, v1, 0x461c4000, v1
	v_rcp_f32_e32 v4, v2
	v_fma_f32 v3, -v2, v4, 1.0
	v_fmac_f32_e32 v4, v3, v4
	v_mul_f32_e32 v6, v5, v4
	v_fma_f32 v3, -v2, v6, v5
	v_fmac_f32_e32 v6, v3, v4
	v_mov_b32_e32 v3, 0
	v_fma_f32 v2, -v2, v6, v5
	v_div_fmas_f32 v2, v2, v4, v6
	v_mov_b32_e32 v4, v3
	v_div_fixup_f32 v1, v2, 0x461c4000, v1
	v_mov_b32_e32 v2, v3
.LBB35_417:
	s_or_b32 exec_lo, exec_lo, s2
	v_or_b32_e32 v5, 0x100, v0
	v_cmp_gt_u32_e64 s0, s9, v5
	s_and_saveexec_b32 s3, s0
	s_cbranch_execz .LBB35_421
; %bb.418:
	v_add_nc_u32_e32 v3, s8, v5
	s_movk_i32 s10, 0x2710
	v_lshlrev_b32_e32 v5, 12, v3
	v_add3_u32 v3, v3, v5, 0x7ed55d16
	v_lshrrev_b32_e32 v5, 19, v3
	v_xor3_b32 v3, v3, v5, 0xc761c23c
	v_lshl_add_u32 v3, v3, 5, v3
	v_add_nc_u32_e32 v5, 0xe9f8cc1d, v3
	v_lshl_add_u32 v3, v3, 9, 0xaccf6200
	v_xor_b32_e32 v3, v5, v3
	v_lshlrev_b32_e32 v5, 3, v3
	v_add3_u32 v3, v3, v5, 0xfd7046c5
	v_lshrrev_b32_e32 v5, 16, v3
	v_xor3_b32 v3, v3, v5, 0xb55a4f09
	v_mul_hi_u32 v5, v3, 3
	v_sub_nc_u32_e32 v6, v3, v5
	v_lshrrev_b32_e32 v6, 1, v6
	v_add_nc_u32_e32 v5, v6, v5
	v_lshrrev_b32_e32 v5, 30, v5
	v_mul_lo_u32 v5, 0x7fffffff, v5
	v_sub_nc_u32_e32 v3, v3, v5
	v_max_u32_e32 v5, 1, v3
	v_mov_b32_e32 v3, 0
.LBB35_419:                             ; =>This Inner Loop Header: Depth=1
	v_mul_hi_u32 v6, 0xbc8f1391, v5
	s_add_i32 s10, s10, -2
	s_cmp_lg_u32 s10, 0
	v_lshrrev_b32_e32 v6, 15, v6
	v_mul_u32_u24_e32 v7, 0xadc8, v6
	v_mul_u32_u24_e32 v6, 0xd47, v6
	v_sub_nc_u32_e32 v5, v5, v7
	v_xor_b32_e32 v7, 0x7fffffff, v6
	v_sub_nc_u32_e32 v8, 0, v6
	v_mul_lo_u32 v5, 0xbc8f, v5
	v_cmp_lt_u32_e32 vcc_lo, v5, v6
	v_cndmask_b32_e32 v6, v8, v7, vcc_lo
	v_add_nc_u32_e32 v5, v6, v5
	v_mul_hi_u32 v6, 0xbc8f1391, v5
	v_lshrrev_b32_e32 v6, 15, v6
	v_mul_u32_u24_e32 v7, 0xadc8, v6
	v_mul_u32_u24_e32 v6, 0xd47, v6
	v_sub_nc_u32_e32 v7, v5, v7
	v_xor_b32_e32 v8, 0x7fffffff, v6
	v_sub_nc_u32_e32 v9, 0, v6
	v_add_nc_u32_e32 v5, -1, v5
	v_mul_lo_u32 v7, 0xbc8f, v7
	v_cvt_f32_u32_e32 v5, v5
	v_cmp_lt_u32_e32 vcc_lo, v7, v6
	v_cndmask_b32_e32 v6, v9, v8, vcc_lo
	v_add_nc_u32_e32 v6, v6, v7
	v_mul_hi_u32 v7, 0xbc8f1391, v6
	v_lshrrev_b32_e32 v7, 15, v7
	v_mul_u32_u24_e32 v8, 0xadc8, v7
	v_mul_u32_u24_e32 v7, 0xd47, v7
	v_sub_nc_u32_e32 v8, v6, v8
	v_xor_b32_e32 v9, 0x7fffffff, v7
	v_sub_nc_u32_e32 v10, 0, v7
	v_add_nc_u32_e32 v6, -1, v6
	v_mul_lo_u32 v8, 0xbc8f, v8
	v_cvt_f32_u32_e32 v6, v6
	v_fma_f32 v6, 0x30000000, v6, 0
	v_cmp_lt_u32_e32 vcc_lo, v8, v7
	v_mul_f32_e32 v6, v6, v6
	v_cndmask_b32_e32 v7, v10, v9, vcc_lo
	v_fma_f32 v9, 0x30000000, v5, 0
	v_add_nc_u32_e32 v7, v7, v8
	v_fmac_f32_e32 v6, v9, v9
	v_mul_hi_u32 v8, 0xbc8f1391, v7
	v_mul_f32_e32 v9, 0x4f800000, v6
	v_lshrrev_b32_e32 v5, 15, v8
	v_mul_u32_u24_e32 v8, 0xadc8, v5
	v_mul_u32_u24_e32 v5, 0xd47, v5
	v_sub_nc_u32_e32 v8, v7, v8
	v_xor_b32_e32 v10, 0x7fffffff, v5
	v_sub_nc_u32_e32 v11, 0, v5
	v_add_nc_u32_e32 v7, -1, v7
	v_mul_lo_u32 v8, 0xbc8f, v8
	v_cvt_f32_u32_e32 v7, v7
	v_fma_f32 v7, 0x30000000, v7, 0
	v_cmp_lt_u32_e32 vcc_lo, v8, v5
	v_cndmask_b32_e32 v5, v11, v10, vcc_lo
	v_cmp_gt_f32_e32 vcc_lo, 0xf800000, v6
	v_add_f32_e32 v10, 1.0, v3
	v_add_nc_u32_e32 v5, v5, v8
	v_cndmask_b32_e32 v6, v6, v9, vcc_lo
	v_add_nc_u32_e32 v8, -1, v5
	v_cvt_f32_u32_e32 v8, v8
	v_fma_f32 v8, 0x30000000, v8, 0
	v_mul_f32_e32 v8, v8, v8
	v_fmac_f32_e32 v8, v7, v7
	v_sqrt_f32_e32 v7, v6
	v_mul_f32_e32 v9, 0x4f800000, v8
	v_cmp_gt_f32_e64 s1, 0xf800000, v8
	v_cndmask_b32_e64 v8, v8, v9, s1
	v_add_nc_u32_e32 v9, -1, v7
	v_add_nc_u32_e32 v11, 1, v7
	v_sqrt_f32_e32 v12, v8
	v_fma_f32 v13, -v9, v7, v6
	v_fma_f32 v14, -v11, v7, v6
	v_cmp_ge_f32_e64 s2, 0, v13
	v_cndmask_b32_e64 v7, v7, v9, s2
	v_cmp_lt_f32_e64 s2, 0, v14
	v_add_nc_u32_e32 v9, -1, v12
	v_cndmask_b32_e64 v7, v7, v11, s2
	v_add_nc_u32_e32 v11, 1, v12
	v_fma_f32 v13, -v9, v12, v8
	v_mul_f32_e32 v14, 0x37800000, v7
	v_fma_f32 v15, -v11, v12, v8
	v_cmp_ge_f32_e64 s2, 0, v13
	v_cndmask_b32_e32 v7, v7, v14, vcc_lo
	v_cmp_class_f32_e64 vcc_lo, v6, 0x260
	v_cndmask_b32_e64 v9, v12, v9, s2
	v_cmp_lt_f32_e64 s2, 0, v15
	v_cndmask_b32_e32 v6, v7, v6, vcc_lo
	v_cndmask_b32_e64 v9, v9, v11, s2
	v_cmp_nge_f32_e32 vcc_lo, 1.0, v6
	v_mul_f32_e32 v7, 0x37800000, v9
	v_cndmask_b32_e32 v3, v10, v3, vcc_lo
	v_cmp_class_f32_e64 vcc_lo, v8, 0x260
	v_cndmask_b32_e64 v6, v9, v7, s1
	v_add_f32_e32 v7, 1.0, v3
	v_cndmask_b32_e32 v6, v6, v8, vcc_lo
	v_cmp_nge_f32_e32 vcc_lo, 1.0, v6
	v_cndmask_b32_e32 v3, v7, v3, vcc_lo
	s_cbranch_scc1 .LBB35_419
; %bb.420:
	v_mul_f32_e32 v3, 4.0, v3
	v_div_scale_f32 v5, null, 0x461c4000, 0x461c4000, v3
	v_rcp_f32_e32 v6, v5
	v_fma_f32 v7, -v5, v6, 1.0
	v_fmac_f32_e32 v6, v7, v6
	v_div_scale_f32 v7, vcc_lo, v3, 0x461c4000, v3
	v_mul_f32_e32 v8, v7, v6
	v_fma_f32 v9, -v5, v8, v7
	v_fmac_f32_e32 v8, v9, v6
	v_fma_f32 v5, -v5, v8, v7
	v_div_fmas_f32 v5, v5, v6, v8
	v_div_fixup_f32 v3, v5, 0x461c4000, v3
.LBB35_421:
	s_or_b32 exec_lo, exec_lo, s3
	v_or_b32_e32 v5, 0x200, v0
	v_cmp_gt_u32_e64 s1, s9, v5
	s_and_saveexec_b32 s10, s1
	s_cbranch_execz .LBB35_425
; %bb.422:
	v_add_nc_u32_e32 v4, s8, v5
	s_movk_i32 s11, 0x2710
	v_lshlrev_b32_e32 v5, 12, v4
	v_add3_u32 v4, v4, v5, 0x7ed55d16
	v_lshrrev_b32_e32 v5, 19, v4
	v_xor3_b32 v4, v4, v5, 0xc761c23c
	v_lshl_add_u32 v4, v4, 5, v4
	v_add_nc_u32_e32 v5, 0xe9f8cc1d, v4
	v_lshl_add_u32 v4, v4, 9, 0xaccf6200
	v_xor_b32_e32 v4, v5, v4
	v_lshlrev_b32_e32 v5, 3, v4
	v_add3_u32 v4, v4, v5, 0xfd7046c5
	v_lshrrev_b32_e32 v5, 16, v4
	v_xor3_b32 v4, v4, v5, 0xb55a4f09
	v_mul_hi_u32 v5, v4, 3
	v_sub_nc_u32_e32 v6, v4, v5
	v_lshrrev_b32_e32 v6, 1, v6
	v_add_nc_u32_e32 v5, v6, v5
	v_lshrrev_b32_e32 v5, 30, v5
	v_mul_lo_u32 v5, 0x7fffffff, v5
	v_sub_nc_u32_e32 v4, v4, v5
	v_max_u32_e32 v5, 1, v4
	v_mov_b32_e32 v4, 0
.LBB35_423:                             ; =>This Inner Loop Header: Depth=1
	v_mul_hi_u32 v6, 0xbc8f1391, v5
	s_add_i32 s11, s11, -2
	s_cmp_lg_u32 s11, 0
	v_lshrrev_b32_e32 v6, 15, v6
	v_mul_u32_u24_e32 v7, 0xadc8, v6
	v_mul_u32_u24_e32 v6, 0xd47, v6
	v_sub_nc_u32_e32 v5, v5, v7
	v_xor_b32_e32 v7, 0x7fffffff, v6
	v_sub_nc_u32_e32 v8, 0, v6
	v_mul_lo_u32 v5, 0xbc8f, v5
	v_cmp_lt_u32_e32 vcc_lo, v5, v6
	v_cndmask_b32_e32 v6, v8, v7, vcc_lo
	v_add_nc_u32_e32 v5, v6, v5
	v_mul_hi_u32 v6, 0xbc8f1391, v5
	v_lshrrev_b32_e32 v6, 15, v6
	v_mul_u32_u24_e32 v7, 0xadc8, v6
	v_mul_u32_u24_e32 v6, 0xd47, v6
	v_sub_nc_u32_e32 v7, v5, v7
	v_xor_b32_e32 v8, 0x7fffffff, v6
	v_sub_nc_u32_e32 v9, 0, v6
	v_add_nc_u32_e32 v5, -1, v5
	v_mul_lo_u32 v7, 0xbc8f, v7
	v_cvt_f32_u32_e32 v5, v5
	v_cmp_lt_u32_e32 vcc_lo, v7, v6
	v_cndmask_b32_e32 v6, v9, v8, vcc_lo
	v_add_nc_u32_e32 v6, v6, v7
	v_mul_hi_u32 v7, 0xbc8f1391, v6
	v_lshrrev_b32_e32 v7, 15, v7
	v_mul_u32_u24_e32 v8, 0xadc8, v7
	v_mul_u32_u24_e32 v7, 0xd47, v7
	v_sub_nc_u32_e32 v8, v6, v8
	v_xor_b32_e32 v9, 0x7fffffff, v7
	v_sub_nc_u32_e32 v10, 0, v7
	v_add_nc_u32_e32 v6, -1, v6
	v_mul_lo_u32 v8, 0xbc8f, v8
	v_cvt_f32_u32_e32 v6, v6
	v_fma_f32 v6, 0x30000000, v6, 0
	v_cmp_lt_u32_e32 vcc_lo, v8, v7
	v_mul_f32_e32 v6, v6, v6
	v_cndmask_b32_e32 v7, v10, v9, vcc_lo
	v_fma_f32 v9, 0x30000000, v5, 0
	v_add_nc_u32_e32 v7, v7, v8
	v_fmac_f32_e32 v6, v9, v9
	v_mul_hi_u32 v8, 0xbc8f1391, v7
	v_mul_f32_e32 v9, 0x4f800000, v6
	v_lshrrev_b32_e32 v5, 15, v8
	v_mul_u32_u24_e32 v8, 0xadc8, v5
	v_mul_u32_u24_e32 v5, 0xd47, v5
	v_sub_nc_u32_e32 v8, v7, v8
	v_xor_b32_e32 v10, 0x7fffffff, v5
	v_sub_nc_u32_e32 v11, 0, v5
	v_add_nc_u32_e32 v7, -1, v7
	v_mul_lo_u32 v8, 0xbc8f, v8
	v_cvt_f32_u32_e32 v7, v7
	v_fma_f32 v7, 0x30000000, v7, 0
	v_cmp_lt_u32_e32 vcc_lo, v8, v5
	v_cndmask_b32_e32 v5, v11, v10, vcc_lo
	v_cmp_gt_f32_e32 vcc_lo, 0xf800000, v6
	v_add_f32_e32 v10, 1.0, v4
	v_add_nc_u32_e32 v5, v5, v8
	v_cndmask_b32_e32 v6, v6, v9, vcc_lo
	v_add_nc_u32_e32 v8, -1, v5
	v_cvt_f32_u32_e32 v8, v8
	v_fma_f32 v8, 0x30000000, v8, 0
	v_mul_f32_e32 v8, v8, v8
	v_fmac_f32_e32 v8, v7, v7
	v_sqrt_f32_e32 v7, v6
	v_mul_f32_e32 v9, 0x4f800000, v8
	v_cmp_gt_f32_e64 s2, 0xf800000, v8
	v_cndmask_b32_e64 v8, v8, v9, s2
	v_add_nc_u32_e32 v9, -1, v7
	v_add_nc_u32_e32 v11, 1, v7
	v_sqrt_f32_e32 v12, v8
	v_fma_f32 v13, -v9, v7, v6
	v_fma_f32 v14, -v11, v7, v6
	v_cmp_ge_f32_e64 s3, 0, v13
	v_cndmask_b32_e64 v7, v7, v9, s3
	v_cmp_lt_f32_e64 s3, 0, v14
	v_add_nc_u32_e32 v9, -1, v12
	v_cndmask_b32_e64 v7, v7, v11, s3
	v_add_nc_u32_e32 v11, 1, v12
	v_fma_f32 v13, -v9, v12, v8
	v_mul_f32_e32 v14, 0x37800000, v7
	v_fma_f32 v15, -v11, v12, v8
	v_cmp_ge_f32_e64 s3, 0, v13
	v_cndmask_b32_e32 v7, v7, v14, vcc_lo
	v_cmp_class_f32_e64 vcc_lo, v6, 0x260
	v_cndmask_b32_e64 v9, v12, v9, s3
	v_cmp_lt_f32_e64 s3, 0, v15
	v_cndmask_b32_e32 v6, v7, v6, vcc_lo
	v_cndmask_b32_e64 v9, v9, v11, s3
	v_cmp_nge_f32_e32 vcc_lo, 1.0, v6
	v_mul_f32_e32 v7, 0x37800000, v9
	v_cndmask_b32_e32 v4, v10, v4, vcc_lo
	v_cmp_class_f32_e64 vcc_lo, v8, 0x260
	v_cndmask_b32_e64 v6, v9, v7, s2
	v_add_f32_e32 v7, 1.0, v4
	v_cndmask_b32_e32 v6, v6, v8, vcc_lo
	v_cmp_nge_f32_e32 vcc_lo, 1.0, v6
	v_cndmask_b32_e32 v4, v7, v4, vcc_lo
	s_cbranch_scc1 .LBB35_423
; %bb.424:
	v_mul_f32_e32 v4, 4.0, v4
	v_div_scale_f32 v5, null, 0x461c4000, 0x461c4000, v4
	v_rcp_f32_e32 v6, v5
	v_fma_f32 v7, -v5, v6, 1.0
	v_fmac_f32_e32 v6, v7, v6
	v_div_scale_f32 v7, vcc_lo, v4, 0x461c4000, v4
	v_mul_f32_e32 v8, v7, v6
	v_fma_f32 v9, -v5, v8, v7
	v_fmac_f32_e32 v8, v9, v6
	v_fma_f32 v5, -v5, v8, v7
	v_div_fmas_f32 v5, v5, v6, v8
	v_div_fixup_f32 v4, v5, 0x461c4000, v4
.LBB35_425:
	s_or_b32 exec_lo, exec_lo, s10
	v_or_b32_e32 v5, 0x300, v0
	v_cmp_gt_u32_e64 s2, s9, v5
	s_and_saveexec_b32 s10, s2
	s_cbranch_execz .LBB35_429
; %bb.426:
	v_add_nc_u32_e32 v2, s8, v5
	s_movk_i32 s11, 0x2710
	v_lshlrev_b32_e32 v5, 12, v2
	v_add3_u32 v2, v2, v5, 0x7ed55d16
	v_lshrrev_b32_e32 v5, 19, v2
	v_xor3_b32 v2, v2, v5, 0xc761c23c
	v_lshl_add_u32 v2, v2, 5, v2
	v_add_nc_u32_e32 v5, 0xe9f8cc1d, v2
	v_lshl_add_u32 v2, v2, 9, 0xaccf6200
	v_xor_b32_e32 v2, v5, v2
	v_lshlrev_b32_e32 v5, 3, v2
	v_add3_u32 v2, v2, v5, 0xfd7046c5
	v_lshrrev_b32_e32 v5, 16, v2
	v_xor3_b32 v2, v2, v5, 0xb55a4f09
	v_mul_hi_u32 v5, v2, 3
	v_sub_nc_u32_e32 v6, v2, v5
	v_lshrrev_b32_e32 v6, 1, v6
	v_add_nc_u32_e32 v5, v6, v5
	v_lshrrev_b32_e32 v5, 30, v5
	v_mul_lo_u32 v5, 0x7fffffff, v5
	v_sub_nc_u32_e32 v2, v2, v5
	v_max_u32_e32 v5, 1, v2
	v_mov_b32_e32 v2, 0
.LBB35_427:                             ; =>This Inner Loop Header: Depth=1
	v_mul_hi_u32 v6, 0xbc8f1391, v5
	s_add_i32 s11, s11, -2
	s_cmp_lg_u32 s11, 0
	v_lshrrev_b32_e32 v6, 15, v6
	v_mul_u32_u24_e32 v7, 0xadc8, v6
	v_mul_u32_u24_e32 v6, 0xd47, v6
	v_sub_nc_u32_e32 v5, v5, v7
	v_xor_b32_e32 v7, 0x7fffffff, v6
	v_sub_nc_u32_e32 v8, 0, v6
	v_mul_lo_u32 v5, 0xbc8f, v5
	v_cmp_lt_u32_e32 vcc_lo, v5, v6
	v_cndmask_b32_e32 v6, v8, v7, vcc_lo
	v_add_nc_u32_e32 v5, v6, v5
	v_mul_hi_u32 v6, 0xbc8f1391, v5
	v_lshrrev_b32_e32 v6, 15, v6
	v_mul_u32_u24_e32 v7, 0xadc8, v6
	v_mul_u32_u24_e32 v6, 0xd47, v6
	v_sub_nc_u32_e32 v7, v5, v7
	v_xor_b32_e32 v8, 0x7fffffff, v6
	v_sub_nc_u32_e32 v9, 0, v6
	v_add_nc_u32_e32 v5, -1, v5
	v_mul_lo_u32 v7, 0xbc8f, v7
	v_cvt_f32_u32_e32 v5, v5
	v_cmp_lt_u32_e32 vcc_lo, v7, v6
	v_cndmask_b32_e32 v6, v9, v8, vcc_lo
	v_add_nc_u32_e32 v6, v6, v7
	v_mul_hi_u32 v7, 0xbc8f1391, v6
	v_lshrrev_b32_e32 v7, 15, v7
	v_mul_u32_u24_e32 v8, 0xadc8, v7
	v_mul_u32_u24_e32 v7, 0xd47, v7
	v_sub_nc_u32_e32 v8, v6, v8
	v_xor_b32_e32 v9, 0x7fffffff, v7
	v_sub_nc_u32_e32 v10, 0, v7
	v_add_nc_u32_e32 v6, -1, v6
	v_mul_lo_u32 v8, 0xbc8f, v8
	v_cvt_f32_u32_e32 v6, v6
	v_fma_f32 v6, 0x30000000, v6, 0
	v_cmp_lt_u32_e32 vcc_lo, v8, v7
	v_mul_f32_e32 v6, v6, v6
	v_cndmask_b32_e32 v7, v10, v9, vcc_lo
	v_fma_f32 v9, 0x30000000, v5, 0
	v_add_nc_u32_e32 v7, v7, v8
	v_fmac_f32_e32 v6, v9, v9
	v_mul_hi_u32 v8, 0xbc8f1391, v7
	v_mul_f32_e32 v9, 0x4f800000, v6
	v_lshrrev_b32_e32 v5, 15, v8
	v_mul_u32_u24_e32 v8, 0xadc8, v5
	v_mul_u32_u24_e32 v5, 0xd47, v5
	v_sub_nc_u32_e32 v8, v7, v8
	v_xor_b32_e32 v10, 0x7fffffff, v5
	v_sub_nc_u32_e32 v11, 0, v5
	v_add_nc_u32_e32 v7, -1, v7
	v_mul_lo_u32 v8, 0xbc8f, v8
	v_cvt_f32_u32_e32 v7, v7
	v_fma_f32 v7, 0x30000000, v7, 0
	v_cmp_lt_u32_e32 vcc_lo, v8, v5
	v_cndmask_b32_e32 v5, v11, v10, vcc_lo
	v_cmp_gt_f32_e32 vcc_lo, 0xf800000, v6
	v_add_f32_e32 v10, 1.0, v2
	v_add_nc_u32_e32 v5, v5, v8
	v_cndmask_b32_e32 v6, v6, v9, vcc_lo
	v_add_nc_u32_e32 v8, -1, v5
	v_cvt_f32_u32_e32 v8, v8
	v_fma_f32 v8, 0x30000000, v8, 0
	v_mul_f32_e32 v8, v8, v8
	v_fmac_f32_e32 v8, v7, v7
	v_sqrt_f32_e32 v7, v6
	v_mul_f32_e32 v9, 0x4f800000, v8
	v_cmp_gt_f32_e64 s3, 0xf800000, v8
	v_cndmask_b32_e64 v8, v8, v9, s3
	v_add_nc_u32_e32 v9, -1, v7
	v_add_nc_u32_e32 v11, 1, v7
	v_sqrt_f32_e32 v12, v8
	v_fma_f32 v13, -v9, v7, v6
	v_fma_f32 v14, -v11, v7, v6
	v_cmp_ge_f32_e64 s8, 0, v13
	v_cndmask_b32_e64 v7, v7, v9, s8
	v_cmp_lt_f32_e64 s8, 0, v14
	v_add_nc_u32_e32 v9, -1, v12
	v_cndmask_b32_e64 v7, v7, v11, s8
	v_add_nc_u32_e32 v11, 1, v12
	v_fma_f32 v13, -v9, v12, v8
	v_mul_f32_e32 v14, 0x37800000, v7
	v_fma_f32 v15, -v11, v12, v8
	v_cmp_ge_f32_e64 s8, 0, v13
	v_cndmask_b32_e32 v7, v7, v14, vcc_lo
	v_cmp_class_f32_e64 vcc_lo, v6, 0x260
	v_cndmask_b32_e64 v9, v12, v9, s8
	v_cmp_lt_f32_e64 s8, 0, v15
	v_cndmask_b32_e32 v6, v7, v6, vcc_lo
	v_cndmask_b32_e64 v9, v9, v11, s8
	v_cmp_nge_f32_e32 vcc_lo, 1.0, v6
	v_mul_f32_e32 v7, 0x37800000, v9
	v_cndmask_b32_e32 v2, v10, v2, vcc_lo
	v_cmp_class_f32_e64 vcc_lo, v8, 0x260
	v_cndmask_b32_e64 v6, v9, v7, s3
	v_add_f32_e32 v7, 1.0, v2
	v_cndmask_b32_e32 v6, v6, v8, vcc_lo
	v_cmp_nge_f32_e32 vcc_lo, 1.0, v6
	v_cndmask_b32_e32 v2, v7, v2, vcc_lo
	s_cbranch_scc1 .LBB35_427
; %bb.428:
	v_mul_f32_e32 v2, 4.0, v2
	v_div_scale_f32 v5, null, 0x461c4000, 0x461c4000, v2
	v_rcp_f32_e32 v6, v5
	v_fma_f32 v7, -v5, v6, 1.0
	v_fmac_f32_e32 v6, v7, v6
	v_div_scale_f32 v7, vcc_lo, v2, 0x461c4000, v2
	v_mul_f32_e32 v8, v7, v6
	v_fma_f32 v9, -v5, v8, v7
	v_fmac_f32_e32 v8, v9, v6
	v_fma_f32 v5, -v5, v8, v7
	v_div_fmas_f32 v5, v5, v6, v8
	v_div_fixup_f32 v2, v5, 0x461c4000, v2
.LBB35_429:
	s_or_b32 exec_lo, exec_lo, s10
	v_add_f32_e32 v3, v1, v3
	v_cndmask_b32_e64 v1, v1, v3, s0
	v_mbcnt_lo_u32_b32 v3, -1, 0
	v_add_f32_e32 v4, v4, v1
	v_cmp_ne_u32_e32 vcc_lo, 31, v3
	v_add_nc_u32_e32 v6, 1, v3
	v_cmp_gt_u32_e64 s0, 28, v3
	v_add_nc_u32_e32 v7, 2, v3
	v_cndmask_b32_e64 v1, v1, v4, s1
	v_add_co_ci_u32_e64 v4, null, 0, v3, vcc_lo
	s_min_u32 s1, s9, 0x100
	v_cmp_gt_u32_e32 vcc_lo, 30, v3
	v_add_f32_e32 v2, v2, v1
	v_lshlrev_b32_e32 v4, 2, v4
	v_cndmask_b32_e64 v5, 0, 2, vcc_lo
	v_cndmask_b32_e64 v1, v1, v2, s2
	v_add_lshl_u32 v5, v5, v3, 2
	ds_bpermute_b32 v2, v4, v1
	v_and_b32_e32 v4, 0xe0, v0
	v_sub_nc_u32_e64 v4, s1, v4 clamp
	v_cmp_lt_u32_e32 vcc_lo, v6, v4
	v_cndmask_b32_e64 v6, 0, 4, s0
	v_cmp_lt_u32_e64 s0, v7, v4
	v_add_nc_u32_e32 v7, 4, v3
	v_add_lshl_u32 v6, v6, v3, 2
	s_waitcnt lgkmcnt(0)
	v_add_f32_e32 v2, v1, v2
	v_cndmask_b32_e32 v2, v1, v2, vcc_lo
	ds_bpermute_b32 v5, v5, v2
	s_waitcnt lgkmcnt(0)
	v_add_f32_e32 v5, v2, v5
	v_cndmask_b32_e64 v2, v2, v5, s0
	v_cmp_gt_u32_e64 s0, 24, v3
	ds_bpermute_b32 v5, v6, v2
	v_cndmask_b32_e64 v6, 0, 8, s0
	v_cmp_lt_u32_e64 s0, v7, v4
	v_add_nc_u32_e32 v7, 8, v3
	v_add_lshl_u32 v6, v6, v3, 2
	s_waitcnt lgkmcnt(0)
	v_add_f32_e32 v5, v2, v5
	v_cndmask_b32_e64 v5, v2, v5, s0
	v_lshlrev_b32_e32 v2, 2, v3
	v_cmp_lt_u32_e64 s0, v7, v4
	v_add_nc_u32_e32 v7, 16, v3
	ds_bpermute_b32 v6, v6, v5
	v_or_b32_e32 v8, 64, v2
	s_waitcnt lgkmcnt(0)
	v_add_f32_e32 v6, v5, v6
	v_cndmask_b32_e64 v5, v5, v6, s0
	v_cmp_lt_u32_e64 s0, v7, v4
	ds_bpermute_b32 v6, v8, v5
	s_waitcnt lgkmcnt(0)
	v_add_f32_e32 v6, v5, v6
	v_cndmask_b32_e64 v4, v5, v6, s0
	s_mov_b32 s0, exec_lo
	v_cndmask_b32_e32 v1, v1, v4, vcc_lo
	v_cmpx_eq_u32_e32 0, v3
; %bb.430:
	v_lshrrev_b32_e32 v4, 3, v0
	v_and_b32_e32 v4, 28, v4
	ds_write_b32 v4, v1 offset:192
; %bb.431:
	s_or_b32 exec_lo, exec_lo, s0
	s_mov_b32 s2, exec_lo
	s_waitcnt lgkmcnt(0)
	s_barrier
	buffer_gl0_inv
	v_cmpx_gt_u32_e32 8, v0
	s_cbranch_execz .LBB35_433
; %bb.432:
	ds_read_b32 v1, v2 offset:192
	v_and_b32_e32 v4, 7, v3
	s_add_i32 s1, s1, 31
	v_or_b32_e32 v2, 16, v2
	s_lshr_b32 s1, s1, 5
	v_cmp_ne_u32_e32 vcc_lo, 7, v4
	v_add_nc_u32_e32 v7, 1, v4
	v_add_co_ci_u32_e64 v5, null, 0, v3, vcc_lo
	v_cmp_gt_u32_e32 vcc_lo, 6, v4
	v_lshlrev_b32_e32 v5, 2, v5
	v_cndmask_b32_e64 v6, 0, 2, vcc_lo
	v_cmp_gt_u32_e32 vcc_lo, s1, v7
	s_waitcnt lgkmcnt(0)
	ds_bpermute_b32 v5, v5, v1
	v_add_lshl_u32 v3, v6, v3, 2
	v_add_nc_u32_e32 v6, 2, v4
	v_add_nc_u32_e32 v4, 4, v4
	v_cmp_gt_u32_e64 s0, s1, v6
	s_waitcnt lgkmcnt(0)
	v_add_f32_e32 v5, v1, v5
	v_cndmask_b32_e32 v5, v1, v5, vcc_lo
	ds_bpermute_b32 v3, v3, v5
	s_waitcnt lgkmcnt(0)
	v_add_f32_e32 v3, v5, v3
	v_cndmask_b32_e64 v3, v5, v3, s0
	v_cmp_gt_u32_e64 s0, s1, v4
	ds_bpermute_b32 v2, v2, v3
	s_waitcnt lgkmcnt(0)
	v_add_f32_e32 v2, v3, v2
	v_cndmask_b32_e64 v2, v3, v2, s0
	v_cndmask_b32_e32 v1, v1, v2, vcc_lo
.LBB35_433:
	s_or_b32 exec_lo, exec_lo, s2
.LBB35_434:
	v_cmp_eq_u32_e64 s0, 0, v0
	s_branch .LBB35_410
.LBB35_435:
	s_cmp_eq_u32 s38, 2
	s_cbranch_scc0 .LBB35_446
; %bb.436:
	s_lshl_b32 s3, s6, 9
	s_mov_b32 s7, 0
	s_lshr_b64 s[0:1], s[40:41], 9
	s_add_i32 s2, s39, s3
	s_cmp_lg_u64 s[0:1], s[6:7]
	s_cbranch_scc0 .LBB35_447
; %bb.437:
	v_add_nc_u32_e32 v2, s2, v0
	s_movk_i32 s8, 0x2710
	v_lshlrev_b32_e32 v1, 12, v2
	v_add3_u32 v1, v2, v1, 0x7ed55d16
	v_lshrrev_b32_e32 v3, 19, v1
	v_xor3_b32 v1, v1, v3, 0xc761c23c
	v_lshl_add_u32 v1, v1, 5, v1
	v_add_nc_u32_e32 v3, 0xe9f8cc1d, v1
	v_lshl_add_u32 v1, v1, 9, 0xaccf6200
	v_xor_b32_e32 v1, v3, v1
	v_lshlrev_b32_e32 v3, 3, v1
	v_add3_u32 v1, v1, v3, 0xfd7046c5
	v_lshrrev_b32_e32 v3, 16, v1
	v_xor3_b32 v1, v1, v3, 0xb55a4f09
	v_mul_hi_u32 v3, v1, 3
	v_sub_nc_u32_e32 v4, v1, v3
	v_lshrrev_b32_e32 v4, 1, v4
	v_add_nc_u32_e32 v3, v4, v3
	v_lshrrev_b32_e32 v3, 30, v3
	v_mul_lo_u32 v3, 0x7fffffff, v3
	v_sub_nc_u32_e32 v1, v1, v3
	v_max_u32_e32 v3, 1, v1
	v_mov_b32_e32 v1, 0
.LBB35_438:                             ; =>This Inner Loop Header: Depth=1
	v_mul_hi_u32 v4, 0xbc8f1391, v3
	s_add_i32 s8, s8, -2
	s_cmp_lg_u32 s8, 0
	v_lshrrev_b32_e32 v4, 15, v4
	v_mul_u32_u24_e32 v5, 0xadc8, v4
	v_mul_u32_u24_e32 v4, 0xd47, v4
	v_sub_nc_u32_e32 v3, v3, v5
	v_xor_b32_e32 v5, 0x7fffffff, v4
	v_sub_nc_u32_e32 v6, 0, v4
	v_mul_lo_u32 v3, 0xbc8f, v3
	v_cmp_lt_u32_e32 vcc_lo, v3, v4
	v_cndmask_b32_e32 v4, v6, v5, vcc_lo
	v_add_nc_u32_e32 v3, v4, v3
	v_mul_hi_u32 v4, 0xbc8f1391, v3
	v_lshrrev_b32_e32 v4, 15, v4
	v_mul_u32_u24_e32 v5, 0xadc8, v4
	v_mul_u32_u24_e32 v4, 0xd47, v4
	v_sub_nc_u32_e32 v5, v3, v5
	v_xor_b32_e32 v6, 0x7fffffff, v4
	v_sub_nc_u32_e32 v7, 0, v4
	v_add_nc_u32_e32 v3, -1, v3
	v_mul_lo_u32 v5, 0xbc8f, v5
	v_cvt_f32_u32_e32 v3, v3
	v_cmp_lt_u32_e32 vcc_lo, v5, v4
	v_cndmask_b32_e32 v4, v7, v6, vcc_lo
	v_add_nc_u32_e32 v4, v4, v5
	v_mul_hi_u32 v5, 0xbc8f1391, v4
	v_lshrrev_b32_e32 v5, 15, v5
	v_mul_u32_u24_e32 v6, 0xadc8, v5
	v_mul_u32_u24_e32 v5, 0xd47, v5
	v_sub_nc_u32_e32 v6, v4, v6
	v_xor_b32_e32 v7, 0x7fffffff, v5
	v_sub_nc_u32_e32 v8, 0, v5
	v_add_nc_u32_e32 v4, -1, v4
	v_mul_lo_u32 v6, 0xbc8f, v6
	v_cvt_f32_u32_e32 v4, v4
	v_fma_f32 v4, 0x30000000, v4, 0
	v_cmp_lt_u32_e32 vcc_lo, v6, v5
	v_mul_f32_e32 v4, v4, v4
	v_cndmask_b32_e32 v5, v8, v7, vcc_lo
	v_fma_f32 v7, 0x30000000, v3, 0
	v_add_nc_u32_e32 v5, v5, v6
	v_fmac_f32_e32 v4, v7, v7
	v_mul_hi_u32 v6, 0xbc8f1391, v5
	v_mul_f32_e32 v7, 0x4f800000, v4
	v_lshrrev_b32_e32 v3, 15, v6
	v_mul_u32_u24_e32 v6, 0xadc8, v3
	v_mul_u32_u24_e32 v3, 0xd47, v3
	v_sub_nc_u32_e32 v6, v5, v6
	v_xor_b32_e32 v8, 0x7fffffff, v3
	v_sub_nc_u32_e32 v9, 0, v3
	v_add_nc_u32_e32 v5, -1, v5
	v_mul_lo_u32 v6, 0xbc8f, v6
	v_cvt_f32_u32_e32 v5, v5
	v_fma_f32 v5, 0x30000000, v5, 0
	v_cmp_lt_u32_e32 vcc_lo, v6, v3
	v_cndmask_b32_e32 v3, v9, v8, vcc_lo
	v_cmp_gt_f32_e32 vcc_lo, 0xf800000, v4
	v_add_f32_e32 v8, 1.0, v1
	v_add_nc_u32_e32 v3, v3, v6
	v_cndmask_b32_e32 v4, v4, v7, vcc_lo
	v_add_nc_u32_e32 v6, -1, v3
	v_cvt_f32_u32_e32 v6, v6
	v_fma_f32 v6, 0x30000000, v6, 0
	v_mul_f32_e32 v6, v6, v6
	v_fmac_f32_e32 v6, v5, v5
	v_sqrt_f32_e32 v5, v4
	v_mul_f32_e32 v7, 0x4f800000, v6
	v_cmp_gt_f32_e64 s0, 0xf800000, v6
	v_cndmask_b32_e64 v6, v6, v7, s0
	v_add_nc_u32_e32 v7, -1, v5
	v_add_nc_u32_e32 v9, 1, v5
	v_sqrt_f32_e32 v10, v6
	v_fma_f32 v11, -v7, v5, v4
	v_fma_f32 v12, -v9, v5, v4
	v_cmp_ge_f32_e64 s1, 0, v11
	v_cndmask_b32_e64 v5, v5, v7, s1
	v_cmp_lt_f32_e64 s1, 0, v12
	v_add_nc_u32_e32 v7, -1, v10
	v_cndmask_b32_e64 v5, v5, v9, s1
	v_add_nc_u32_e32 v9, 1, v10
	v_fma_f32 v11, -v7, v10, v6
	v_mul_f32_e32 v12, 0x37800000, v5
	v_fma_f32 v13, -v9, v10, v6
	v_cmp_ge_f32_e64 s1, 0, v11
	v_cndmask_b32_e32 v5, v5, v12, vcc_lo
	v_cmp_class_f32_e64 vcc_lo, v4, 0x260
	v_cndmask_b32_e64 v7, v10, v7, s1
	v_cmp_lt_f32_e64 s1, 0, v13
	v_cndmask_b32_e32 v4, v5, v4, vcc_lo
	v_cndmask_b32_e64 v7, v7, v9, s1
	v_cmp_nge_f32_e32 vcc_lo, 1.0, v4
	v_mul_f32_e32 v5, 0x37800000, v7
	v_cndmask_b32_e32 v1, v8, v1, vcc_lo
	v_cmp_class_f32_e64 vcc_lo, v6, 0x260
	v_cndmask_b32_e64 v4, v7, v5, s0
	v_add_f32_e32 v5, 1.0, v1
	v_cndmask_b32_e32 v4, v4, v6, vcc_lo
	v_cmp_nge_f32_e32 vcc_lo, 1.0, v4
	v_cndmask_b32_e32 v1, v5, v1, vcc_lo
	s_cbranch_scc1 .LBB35_438
; %bb.439:
	s_movk_i32 s0, 0x1001
	s_movk_i32 s8, 0x2710
	v_mad_u64_u32 v[2:3], null, v2, s0, 0x7ee55e16
	v_lshrrev_b32_e32 v3, 19, v2
	v_xor3_b32 v2, v2, v3, 0xc761c23c
	v_lshl_add_u32 v2, v2, 5, v2
	v_add_nc_u32_e32 v3, 0xe9f8cc1d, v2
	v_lshl_add_u32 v2, v2, 9, 0xaccf6200
	v_xor_b32_e32 v2, v3, v2
	v_lshlrev_b32_e32 v3, 3, v2
	v_add3_u32 v2, v2, v3, 0xfd7046c5
	v_lshrrev_b32_e32 v3, 16, v2
	v_xor3_b32 v2, v2, v3, 0xb55a4f09
	v_mul_hi_u32 v3, v2, 3
	v_sub_nc_u32_e32 v4, v2, v3
	v_lshrrev_b32_e32 v4, 1, v4
	v_add_nc_u32_e32 v3, v4, v3
	v_lshrrev_b32_e32 v3, 30, v3
	v_mul_lo_u32 v3, 0x7fffffff, v3
	v_sub_nc_u32_e32 v2, v2, v3
	v_max_u32_e32 v3, 1, v2
	v_mov_b32_e32 v2, 0
.LBB35_440:                             ; =>This Inner Loop Header: Depth=1
	v_mul_hi_u32 v4, 0xbc8f1391, v3
	s_add_i32 s8, s8, -2
	s_cmp_lg_u32 s8, 0
	v_lshrrev_b32_e32 v4, 15, v4
	v_mul_u32_u24_e32 v5, 0xadc8, v4
	v_mul_u32_u24_e32 v4, 0xd47, v4
	v_sub_nc_u32_e32 v3, v3, v5
	v_xor_b32_e32 v5, 0x7fffffff, v4
	v_sub_nc_u32_e32 v6, 0, v4
	v_mul_lo_u32 v3, 0xbc8f, v3
	v_cmp_lt_u32_e32 vcc_lo, v3, v4
	v_cndmask_b32_e32 v4, v6, v5, vcc_lo
	v_add_nc_u32_e32 v3, v4, v3
	v_mul_hi_u32 v4, 0xbc8f1391, v3
	v_lshrrev_b32_e32 v4, 15, v4
	v_mul_u32_u24_e32 v5, 0xadc8, v4
	v_mul_u32_u24_e32 v4, 0xd47, v4
	v_sub_nc_u32_e32 v5, v3, v5
	v_xor_b32_e32 v6, 0x7fffffff, v4
	v_sub_nc_u32_e32 v7, 0, v4
	v_add_nc_u32_e32 v3, -1, v3
	v_mul_lo_u32 v5, 0xbc8f, v5
	v_cvt_f32_u32_e32 v3, v3
	v_cmp_lt_u32_e32 vcc_lo, v5, v4
	v_cndmask_b32_e32 v4, v7, v6, vcc_lo
	v_add_nc_u32_e32 v4, v4, v5
	v_mul_hi_u32 v5, 0xbc8f1391, v4
	v_lshrrev_b32_e32 v5, 15, v5
	v_mul_u32_u24_e32 v6, 0xadc8, v5
	v_mul_u32_u24_e32 v5, 0xd47, v5
	v_sub_nc_u32_e32 v6, v4, v6
	v_xor_b32_e32 v7, 0x7fffffff, v5
	v_sub_nc_u32_e32 v8, 0, v5
	v_add_nc_u32_e32 v4, -1, v4
	v_mul_lo_u32 v6, 0xbc8f, v6
	v_cvt_f32_u32_e32 v4, v4
	v_fma_f32 v4, 0x30000000, v4, 0
	v_cmp_lt_u32_e32 vcc_lo, v6, v5
	v_mul_f32_e32 v4, v4, v4
	v_cndmask_b32_e32 v5, v8, v7, vcc_lo
	v_fma_f32 v7, 0x30000000, v3, 0
	v_add_nc_u32_e32 v5, v5, v6
	v_fmac_f32_e32 v4, v7, v7
	v_mul_hi_u32 v6, 0xbc8f1391, v5
	v_mul_f32_e32 v7, 0x4f800000, v4
	v_lshrrev_b32_e32 v3, 15, v6
	v_mul_u32_u24_e32 v6, 0xadc8, v3
	v_mul_u32_u24_e32 v3, 0xd47, v3
	v_sub_nc_u32_e32 v6, v5, v6
	v_xor_b32_e32 v8, 0x7fffffff, v3
	v_sub_nc_u32_e32 v9, 0, v3
	v_add_nc_u32_e32 v5, -1, v5
	v_mul_lo_u32 v6, 0xbc8f, v6
	v_cvt_f32_u32_e32 v5, v5
	v_fma_f32 v5, 0x30000000, v5, 0
	v_cmp_lt_u32_e32 vcc_lo, v6, v3
	v_cndmask_b32_e32 v3, v9, v8, vcc_lo
	v_cmp_gt_f32_e32 vcc_lo, 0xf800000, v4
	v_add_f32_e32 v8, 1.0, v2
	v_add_nc_u32_e32 v3, v3, v6
	v_cndmask_b32_e32 v4, v4, v7, vcc_lo
	v_add_nc_u32_e32 v6, -1, v3
	v_cvt_f32_u32_e32 v6, v6
	v_fma_f32 v6, 0x30000000, v6, 0
	v_mul_f32_e32 v6, v6, v6
	v_fmac_f32_e32 v6, v5, v5
	v_sqrt_f32_e32 v5, v4
	v_mul_f32_e32 v7, 0x4f800000, v6
	v_cmp_gt_f32_e64 s0, 0xf800000, v6
	v_cndmask_b32_e64 v6, v6, v7, s0
	v_add_nc_u32_e32 v7, -1, v5
	v_add_nc_u32_e32 v9, 1, v5
	v_sqrt_f32_e32 v10, v6
	v_fma_f32 v11, -v7, v5, v4
	v_fma_f32 v12, -v9, v5, v4
	v_cmp_ge_f32_e64 s1, 0, v11
	v_cndmask_b32_e64 v5, v5, v7, s1
	v_cmp_lt_f32_e64 s1, 0, v12
	v_add_nc_u32_e32 v7, -1, v10
	v_cndmask_b32_e64 v5, v5, v9, s1
	v_add_nc_u32_e32 v9, 1, v10
	v_fma_f32 v11, -v7, v10, v6
	v_mul_f32_e32 v12, 0x37800000, v5
	v_fma_f32 v13, -v9, v10, v6
	v_cmp_ge_f32_e64 s1, 0, v11
	v_cndmask_b32_e32 v5, v5, v12, vcc_lo
	v_cmp_class_f32_e64 vcc_lo, v4, 0x260
	v_cndmask_b32_e64 v7, v10, v7, s1
	v_cmp_lt_f32_e64 s1, 0, v13
	v_cndmask_b32_e32 v4, v5, v4, vcc_lo
	v_cndmask_b32_e64 v7, v7, v9, s1
	v_cmp_nge_f32_e32 vcc_lo, 1.0, v4
	v_mul_f32_e32 v5, 0x37800000, v7
	v_cndmask_b32_e32 v2, v8, v2, vcc_lo
	v_cmp_class_f32_e64 vcc_lo, v6, 0x260
	v_cndmask_b32_e64 v4, v7, v5, s0
	v_add_f32_e32 v5, 1.0, v2
	v_cndmask_b32_e32 v4, v4, v6, vcc_lo
	v_cmp_nge_f32_e32 vcc_lo, 1.0, v4
	v_cndmask_b32_e32 v2, v5, v2, vcc_lo
	s_cbranch_scc1 .LBB35_440
; %bb.441:
	v_mul_f32_e32 v1, 4.0, v1
	v_mul_f32_e32 v2, 4.0, v2
	v_div_scale_f32 v3, null, 0x461c4000, 0x461c4000, v1
	v_div_scale_f32 v4, null, 0x461c4000, 0x461c4000, v2
	v_div_scale_f32 v9, vcc_lo, v1, 0x461c4000, v1
	v_rcp_f32_e32 v5, v3
	v_rcp_f32_e32 v6, v4
	v_fma_f32 v7, -v3, v5, 1.0
	v_fma_f32 v8, -v4, v6, 1.0
	v_fmac_f32_e32 v5, v7, v5
	v_div_scale_f32 v7, s0, v2, 0x461c4000, v2
	v_fmac_f32_e32 v6, v8, v6
	v_mul_f32_e32 v8, v9, v5
	v_mul_f32_e32 v10, v7, v6
	v_fma_f32 v11, -v3, v8, v9
	v_fma_f32 v12, -v4, v10, v7
	v_fmac_f32_e32 v8, v11, v5
	v_fmac_f32_e32 v10, v12, v6
	v_fma_f32 v3, -v3, v8, v9
	v_fma_f32 v4, -v4, v10, v7
	v_div_fmas_f32 v3, v3, v5, v8
	s_mov_b32 vcc_lo, s0
	s_mov_b32 s0, exec_lo
	v_div_fmas_f32 v4, v4, v6, v10
	v_div_fixup_f32 v1, v3, 0x461c4000, v1
	v_div_fixup_f32 v2, v4, 0x461c4000, v2
	v_add_f32_e32 v1, v1, v2
	v_mov_b32_dpp v2, v1 quad_perm:[1,0,3,2] row_mask:0xf bank_mask:0xf
	v_add_f32_e32 v1, v1, v2
	v_mov_b32_dpp v2, v1 quad_perm:[2,3,0,1] row_mask:0xf bank_mask:0xf
	v_add_f32_e32 v1, v1, v2
	v_mov_b32_dpp v2, v1 row_ror:4 row_mask:0xf bank_mask:0xf
	v_add_f32_e32 v1, v1, v2
	v_mov_b32_dpp v2, v1 row_ror:8 row_mask:0xf bank_mask:0xf
	v_add_f32_e32 v1, v1, v2
	ds_swizzle_b32 v2, v1 offset:swizzle(BROADCAST,32,15)
	s_waitcnt lgkmcnt(0)
	v_add_f32_e32 v1, v1, v2
	v_mov_b32_e32 v2, 0
	ds_bpermute_b32 v1, v2, v1 offset:124
	v_mbcnt_lo_u32_b32 v2, -1, 0
	v_cmpx_eq_u32_e32 0, v2
	s_cbranch_execz .LBB35_443
; %bb.442:
	v_lshrrev_b32_e32 v3, 3, v0
	v_and_b32_e32 v3, 28, v3
	s_waitcnt lgkmcnt(0)
	ds_write_b32 v3, v1 offset:64
.LBB35_443:
	s_or_b32 exec_lo, exec_lo, s0
	s_mov_b32 s0, exec_lo
	s_waitcnt lgkmcnt(0)
	s_barrier
	buffer_gl0_inv
	v_cmpx_gt_u32_e32 32, v0
	s_cbranch_execz .LBB35_445
; %bb.444:
	v_and_b32_e32 v1, 7, v2
	v_lshlrev_b32_e32 v3, 2, v1
	v_cmp_ne_u32_e32 vcc_lo, 7, v1
	ds_read_b32 v3, v3 offset:64
	v_add_co_ci_u32_e64 v4, null, 0, v2, vcc_lo
	v_cmp_gt_u32_e32 vcc_lo, 6, v1
	v_lshlrev_b32_e32 v4, 2, v4
	v_cndmask_b32_e64 v1, 0, 2, vcc_lo
	v_add_lshl_u32 v1, v1, v2, 2
	v_lshlrev_b32_e32 v2, 2, v2
	v_or_b32_e32 v2, 16, v2
	s_waitcnt lgkmcnt(0)
	ds_bpermute_b32 v4, v4, v3
	s_waitcnt lgkmcnt(0)
	v_add_f32_e32 v3, v3, v4
	ds_bpermute_b32 v1, v1, v3
	s_waitcnt lgkmcnt(0)
	v_add_f32_e32 v1, v3, v1
	;; [unrolled: 3-line block ×3, first 2 shown]
.LBB35_445:
	s_or_b32 exec_lo, exec_lo, s0
	s_mov_b32 s0, 0
	s_branch .LBB35_448
.LBB35_446:
                                        ; implicit-def: $vgpr1
	s_branch .LBB35_474
.LBB35_447:
	s_mov_b32 s0, -1
                                        ; implicit-def: $vgpr1
.LBB35_448:
	s_and_b32 vcc_lo, exec_lo, s0
	s_cbranch_vccz .LBB35_462
; %bb.449:
	v_mov_b32_e32 v1, 0
	s_sub_i32 s3, s40, s3
	s_mov_b32 s8, exec_lo
	v_mov_b32_e32 v3, v1
	v_cmpx_gt_u32_e64 s3, v0
	s_cbranch_execz .LBB35_453
; %bb.450:
	v_add_nc_u32_e32 v2, s2, v0
	s_movk_i32 s9, 0x2710
	v_lshlrev_b32_e32 v3, 12, v2
	v_add3_u32 v2, v2, v3, 0x7ed55d16
	v_lshrrev_b32_e32 v3, 19, v2
	v_xor3_b32 v2, v2, v3, 0xc761c23c
	v_lshl_add_u32 v2, v2, 5, v2
	v_add_nc_u32_e32 v3, 0xe9f8cc1d, v2
	v_lshl_add_u32 v2, v2, 9, 0xaccf6200
	v_xor_b32_e32 v2, v3, v2
	v_lshlrev_b32_e32 v3, 3, v2
	v_add3_u32 v2, v2, v3, 0xfd7046c5
	v_lshrrev_b32_e32 v3, 16, v2
	v_xor3_b32 v2, v2, v3, 0xb55a4f09
	v_mul_hi_u32 v3, v2, 3
	v_sub_nc_u32_e32 v4, v2, v3
	v_lshrrev_b32_e32 v4, 1, v4
	v_add_nc_u32_e32 v3, v4, v3
	v_lshrrev_b32_e32 v3, 30, v3
	v_mul_lo_u32 v3, 0x7fffffff, v3
	v_sub_nc_u32_e32 v2, v2, v3
	v_max_u32_e32 v2, 1, v2
.LBB35_451:                             ; =>This Inner Loop Header: Depth=1
	v_mul_hi_u32 v3, 0xbc8f1391, v2
	s_add_i32 s9, s9, -2
	s_cmp_lg_u32 s9, 0
	v_lshrrev_b32_e32 v3, 15, v3
	v_mul_u32_u24_e32 v4, 0xadc8, v3
	v_mul_u32_u24_e32 v3, 0xd47, v3
	v_sub_nc_u32_e32 v2, v2, v4
	v_xor_b32_e32 v4, 0x7fffffff, v3
	v_sub_nc_u32_e32 v5, 0, v3
	v_mul_lo_u32 v2, 0xbc8f, v2
	v_cmp_lt_u32_e32 vcc_lo, v2, v3
	v_cndmask_b32_e32 v3, v5, v4, vcc_lo
	v_add_nc_u32_e32 v2, v3, v2
	v_mul_hi_u32 v3, 0xbc8f1391, v2
	v_lshrrev_b32_e32 v3, 15, v3
	v_mul_u32_u24_e32 v4, 0xadc8, v3
	v_mul_u32_u24_e32 v3, 0xd47, v3
	v_sub_nc_u32_e32 v4, v2, v4
	v_xor_b32_e32 v5, 0x7fffffff, v3
	v_sub_nc_u32_e32 v6, 0, v3
	v_add_nc_u32_e32 v2, -1, v2
	v_mul_lo_u32 v4, 0xbc8f, v4
	v_cvt_f32_u32_e32 v2, v2
	v_cmp_lt_u32_e32 vcc_lo, v4, v3
	v_cndmask_b32_e32 v3, v6, v5, vcc_lo
	v_add_nc_u32_e32 v3, v3, v4
	v_mul_hi_u32 v4, 0xbc8f1391, v3
	v_lshrrev_b32_e32 v4, 15, v4
	v_mul_u32_u24_e32 v5, 0xadc8, v4
	v_mul_u32_u24_e32 v4, 0xd47, v4
	v_sub_nc_u32_e32 v5, v3, v5
	v_xor_b32_e32 v6, 0x7fffffff, v4
	v_sub_nc_u32_e32 v7, 0, v4
	v_add_nc_u32_e32 v3, -1, v3
	v_mul_lo_u32 v5, 0xbc8f, v5
	v_cvt_f32_u32_e32 v3, v3
	v_fma_f32 v3, 0x30000000, v3, 0
	v_cmp_lt_u32_e32 vcc_lo, v5, v4
	v_mul_f32_e32 v3, v3, v3
	v_cndmask_b32_e32 v4, v7, v6, vcc_lo
	v_fma_f32 v6, 0x30000000, v2, 0
	v_add_nc_u32_e32 v4, v4, v5
	v_fmac_f32_e32 v3, v6, v6
	v_mul_hi_u32 v5, 0xbc8f1391, v4
	v_mul_f32_e32 v6, 0x4f800000, v3
	v_lshrrev_b32_e32 v2, 15, v5
	v_mul_u32_u24_e32 v5, 0xadc8, v2
	v_mul_u32_u24_e32 v2, 0xd47, v2
	v_sub_nc_u32_e32 v5, v4, v5
	v_xor_b32_e32 v7, 0x7fffffff, v2
	v_sub_nc_u32_e32 v8, 0, v2
	v_add_nc_u32_e32 v4, -1, v4
	v_mul_lo_u32 v5, 0xbc8f, v5
	v_cvt_f32_u32_e32 v4, v4
	v_fma_f32 v4, 0x30000000, v4, 0
	v_cmp_lt_u32_e32 vcc_lo, v5, v2
	v_cndmask_b32_e32 v2, v8, v7, vcc_lo
	v_cmp_gt_f32_e32 vcc_lo, 0xf800000, v3
	v_add_f32_e32 v7, 1.0, v1
	v_add_nc_u32_e32 v2, v2, v5
	v_cndmask_b32_e32 v3, v3, v6, vcc_lo
	v_add_nc_u32_e32 v5, -1, v2
	v_cvt_f32_u32_e32 v5, v5
	v_fma_f32 v5, 0x30000000, v5, 0
	v_mul_f32_e32 v5, v5, v5
	v_fmac_f32_e32 v5, v4, v4
	v_sqrt_f32_e32 v4, v3
	v_mul_f32_e32 v6, 0x4f800000, v5
	v_cmp_gt_f32_e64 s0, 0xf800000, v5
	v_cndmask_b32_e64 v5, v5, v6, s0
	v_add_nc_u32_e32 v6, -1, v4
	v_add_nc_u32_e32 v8, 1, v4
	v_sqrt_f32_e32 v9, v5
	v_fma_f32 v10, -v6, v4, v3
	v_fma_f32 v11, -v8, v4, v3
	v_cmp_ge_f32_e64 s1, 0, v10
	v_cndmask_b32_e64 v4, v4, v6, s1
	v_cmp_lt_f32_e64 s1, 0, v11
	v_add_nc_u32_e32 v6, -1, v9
	v_cndmask_b32_e64 v4, v4, v8, s1
	v_add_nc_u32_e32 v8, 1, v9
	v_fma_f32 v10, -v6, v9, v5
	v_mul_f32_e32 v11, 0x37800000, v4
	v_fma_f32 v12, -v8, v9, v5
	v_cmp_ge_f32_e64 s1, 0, v10
	v_cndmask_b32_e32 v4, v4, v11, vcc_lo
	v_cmp_class_f32_e64 vcc_lo, v3, 0x260
	v_cndmask_b32_e64 v6, v9, v6, s1
	v_cmp_lt_f32_e64 s1, 0, v12
	v_cndmask_b32_e32 v3, v4, v3, vcc_lo
	v_cndmask_b32_e64 v6, v6, v8, s1
	v_cmp_nge_f32_e32 vcc_lo, 1.0, v3
	v_mul_f32_e32 v4, 0x37800000, v6
	v_cndmask_b32_e32 v1, v7, v1, vcc_lo
	v_cmp_class_f32_e64 vcc_lo, v5, 0x260
	v_cndmask_b32_e64 v3, v6, v4, s0
	v_add_f32_e32 v4, 1.0, v1
	v_cndmask_b32_e32 v3, v3, v5, vcc_lo
	v_cmp_nge_f32_e32 vcc_lo, 1.0, v3
	v_cndmask_b32_e32 v1, v4, v1, vcc_lo
	s_cbranch_scc1 .LBB35_451
; %bb.452:
	v_mul_f32_e32 v1, 4.0, v1
	v_div_scale_f32 v2, null, 0x461c4000, 0x461c4000, v1
	v_div_scale_f32 v5, vcc_lo, v1, 0x461c4000, v1
	v_rcp_f32_e32 v3, v2
	v_fma_f32 v4, -v2, v3, 1.0
	v_fmac_f32_e32 v3, v4, v3
	v_mul_f32_e32 v4, v5, v3
	v_fma_f32 v6, -v2, v4, v5
	v_fmac_f32_e32 v4, v6, v3
	v_fma_f32 v2, -v2, v4, v5
	v_div_fmas_f32 v2, v2, v3, v4
	v_mov_b32_e32 v3, 0
	v_div_fixup_f32 v1, v2, 0x461c4000, v1
.LBB35_453:
	s_or_b32 exec_lo, exec_lo, s8
	v_or_b32_e32 v2, 0x100, v0
	v_cmp_gt_u32_e64 s0, s3, v2
	s_and_saveexec_b32 s8, s0
	s_cbranch_execz .LBB35_457
; %bb.454:
	v_add_nc_u32_e32 v2, s2, v2
	s_movk_i32 s9, 0x2710
	v_lshlrev_b32_e32 v3, 12, v2
	v_add3_u32 v2, v2, v3, 0x7ed55d16
	v_lshrrev_b32_e32 v3, 19, v2
	v_xor3_b32 v2, v2, v3, 0xc761c23c
	v_lshl_add_u32 v2, v2, 5, v2
	v_add_nc_u32_e32 v3, 0xe9f8cc1d, v2
	v_lshl_add_u32 v2, v2, 9, 0xaccf6200
	v_xor_b32_e32 v2, v3, v2
	v_lshlrev_b32_e32 v3, 3, v2
	v_add3_u32 v2, v2, v3, 0xfd7046c5
	v_lshrrev_b32_e32 v3, 16, v2
	v_xor3_b32 v2, v2, v3, 0xb55a4f09
	v_mul_hi_u32 v3, v2, 3
	v_sub_nc_u32_e32 v4, v2, v3
	v_lshrrev_b32_e32 v4, 1, v4
	v_add_nc_u32_e32 v3, v4, v3
	v_lshrrev_b32_e32 v3, 30, v3
	v_mul_lo_u32 v3, 0x7fffffff, v3
	v_sub_nc_u32_e32 v2, v2, v3
	v_max_u32_e32 v3, 1, v2
	v_mov_b32_e32 v2, 0
.LBB35_455:                             ; =>This Inner Loop Header: Depth=1
	v_mul_hi_u32 v4, 0xbc8f1391, v3
	s_add_i32 s9, s9, -2
	s_cmp_lg_u32 s9, 0
	v_lshrrev_b32_e32 v4, 15, v4
	v_mul_u32_u24_e32 v5, 0xadc8, v4
	v_mul_u32_u24_e32 v4, 0xd47, v4
	v_sub_nc_u32_e32 v3, v3, v5
	v_xor_b32_e32 v5, 0x7fffffff, v4
	v_sub_nc_u32_e32 v6, 0, v4
	v_mul_lo_u32 v3, 0xbc8f, v3
	v_cmp_lt_u32_e32 vcc_lo, v3, v4
	v_cndmask_b32_e32 v4, v6, v5, vcc_lo
	v_add_nc_u32_e32 v3, v4, v3
	v_mul_hi_u32 v4, 0xbc8f1391, v3
	v_lshrrev_b32_e32 v4, 15, v4
	v_mul_u32_u24_e32 v5, 0xadc8, v4
	v_mul_u32_u24_e32 v4, 0xd47, v4
	v_sub_nc_u32_e32 v5, v3, v5
	v_xor_b32_e32 v6, 0x7fffffff, v4
	v_sub_nc_u32_e32 v7, 0, v4
	v_add_nc_u32_e32 v3, -1, v3
	v_mul_lo_u32 v5, 0xbc8f, v5
	v_cvt_f32_u32_e32 v3, v3
	v_cmp_lt_u32_e32 vcc_lo, v5, v4
	v_cndmask_b32_e32 v4, v7, v6, vcc_lo
	v_add_nc_u32_e32 v4, v4, v5
	v_mul_hi_u32 v5, 0xbc8f1391, v4
	v_lshrrev_b32_e32 v5, 15, v5
	v_mul_u32_u24_e32 v6, 0xadc8, v5
	v_mul_u32_u24_e32 v5, 0xd47, v5
	v_sub_nc_u32_e32 v6, v4, v6
	v_xor_b32_e32 v7, 0x7fffffff, v5
	v_sub_nc_u32_e32 v8, 0, v5
	v_add_nc_u32_e32 v4, -1, v4
	v_mul_lo_u32 v6, 0xbc8f, v6
	v_cvt_f32_u32_e32 v4, v4
	v_fma_f32 v4, 0x30000000, v4, 0
	v_cmp_lt_u32_e32 vcc_lo, v6, v5
	v_mul_f32_e32 v4, v4, v4
	v_cndmask_b32_e32 v5, v8, v7, vcc_lo
	v_fma_f32 v7, 0x30000000, v3, 0
	v_add_nc_u32_e32 v5, v5, v6
	v_fmac_f32_e32 v4, v7, v7
	v_mul_hi_u32 v6, 0xbc8f1391, v5
	v_mul_f32_e32 v7, 0x4f800000, v4
	v_lshrrev_b32_e32 v3, 15, v6
	v_mul_u32_u24_e32 v6, 0xadc8, v3
	v_mul_u32_u24_e32 v3, 0xd47, v3
	v_sub_nc_u32_e32 v6, v5, v6
	v_xor_b32_e32 v8, 0x7fffffff, v3
	v_sub_nc_u32_e32 v9, 0, v3
	v_add_nc_u32_e32 v5, -1, v5
	v_mul_lo_u32 v6, 0xbc8f, v6
	v_cvt_f32_u32_e32 v5, v5
	v_fma_f32 v5, 0x30000000, v5, 0
	v_cmp_lt_u32_e32 vcc_lo, v6, v3
	v_cndmask_b32_e32 v3, v9, v8, vcc_lo
	v_cmp_gt_f32_e32 vcc_lo, 0xf800000, v4
	v_add_f32_e32 v8, 1.0, v2
	v_add_nc_u32_e32 v3, v3, v6
	v_cndmask_b32_e32 v4, v4, v7, vcc_lo
	v_add_nc_u32_e32 v6, -1, v3
	v_cvt_f32_u32_e32 v6, v6
	v_fma_f32 v6, 0x30000000, v6, 0
	v_mul_f32_e32 v6, v6, v6
	v_fmac_f32_e32 v6, v5, v5
	v_sqrt_f32_e32 v5, v4
	v_mul_f32_e32 v7, 0x4f800000, v6
	v_cmp_gt_f32_e64 s1, 0xf800000, v6
	v_cndmask_b32_e64 v6, v6, v7, s1
	v_add_nc_u32_e32 v7, -1, v5
	v_add_nc_u32_e32 v9, 1, v5
	v_sqrt_f32_e32 v10, v6
	v_fma_f32 v11, -v7, v5, v4
	v_fma_f32 v12, -v9, v5, v4
	v_cmp_ge_f32_e64 s2, 0, v11
	v_cndmask_b32_e64 v5, v5, v7, s2
	v_cmp_lt_f32_e64 s2, 0, v12
	v_add_nc_u32_e32 v7, -1, v10
	v_cndmask_b32_e64 v5, v5, v9, s2
	v_add_nc_u32_e32 v9, 1, v10
	v_fma_f32 v11, -v7, v10, v6
	v_mul_f32_e32 v12, 0x37800000, v5
	v_fma_f32 v13, -v9, v10, v6
	v_cmp_ge_f32_e64 s2, 0, v11
	v_cndmask_b32_e32 v5, v5, v12, vcc_lo
	v_cmp_class_f32_e64 vcc_lo, v4, 0x260
	v_cndmask_b32_e64 v7, v10, v7, s2
	v_cmp_lt_f32_e64 s2, 0, v13
	v_cndmask_b32_e32 v4, v5, v4, vcc_lo
	v_cndmask_b32_e64 v7, v7, v9, s2
	v_cmp_nge_f32_e32 vcc_lo, 1.0, v4
	v_mul_f32_e32 v5, 0x37800000, v7
	v_cndmask_b32_e32 v2, v8, v2, vcc_lo
	v_cmp_class_f32_e64 vcc_lo, v6, 0x260
	v_cndmask_b32_e64 v4, v7, v5, s1
	v_add_f32_e32 v5, 1.0, v2
	v_cndmask_b32_e32 v4, v4, v6, vcc_lo
	v_cmp_nge_f32_e32 vcc_lo, 1.0, v4
	v_cndmask_b32_e32 v2, v5, v2, vcc_lo
	s_cbranch_scc1 .LBB35_455
; %bb.456:
	v_mul_f32_e32 v2, 4.0, v2
	v_div_scale_f32 v3, null, 0x461c4000, 0x461c4000, v2
	v_rcp_f32_e32 v4, v3
	v_fma_f32 v5, -v3, v4, 1.0
	v_fmac_f32_e32 v4, v5, v4
	v_div_scale_f32 v5, vcc_lo, v2, 0x461c4000, v2
	v_mul_f32_e32 v6, v5, v4
	v_fma_f32 v7, -v3, v6, v5
	v_fmac_f32_e32 v6, v7, v4
	v_fma_f32 v3, -v3, v6, v5
	v_div_fmas_f32 v3, v3, v4, v6
	v_div_fixup_f32 v3, v3, 0x461c4000, v2
.LBB35_457:
	s_or_b32 exec_lo, exec_lo, s8
	v_mbcnt_lo_u32_b32 v2, -1, 0
	v_add_f32_e32 v3, v3, v1
	s_min_u32 s1, s3, 0x100
	v_cmp_ne_u32_e32 vcc_lo, 31, v2
	v_cndmask_b32_e64 v1, v1, v3, s0
	v_add_nc_u32_e32 v6, 1, v2
	v_cmp_gt_u32_e64 s0, 28, v2
	v_add_nc_u32_e32 v7, 2, v2
	v_add_co_ci_u32_e64 v4, null, 0, v2, vcc_lo
	v_cmp_gt_u32_e32 vcc_lo, 30, v2
	v_lshlrev_b32_e32 v3, 2, v4
	v_and_b32_e32 v4, 0xe0, v0
	v_cndmask_b32_e64 v5, 0, 2, vcc_lo
	ds_bpermute_b32 v3, v3, v1
	v_sub_nc_u32_e64 v4, s1, v4 clamp
	v_add_lshl_u32 v5, v5, v2, 2
	v_cmp_lt_u32_e32 vcc_lo, v6, v4
	v_cndmask_b32_e64 v6, 0, 4, s0
	v_cmp_lt_u32_e64 s0, v7, v4
	v_add_nc_u32_e32 v7, 4, v2
	v_add_lshl_u32 v6, v6, v2, 2
	s_waitcnt lgkmcnt(0)
	v_add_f32_e32 v3, v1, v3
	v_cndmask_b32_e32 v3, v1, v3, vcc_lo
	ds_bpermute_b32 v5, v5, v3
	s_waitcnt lgkmcnt(0)
	v_add_f32_e32 v5, v3, v5
	v_cndmask_b32_e64 v3, v3, v5, s0
	v_cmp_gt_u32_e64 s0, 24, v2
	ds_bpermute_b32 v5, v6, v3
	v_cndmask_b32_e64 v6, 0, 8, s0
	v_cmp_lt_u32_e64 s0, v7, v4
	v_add_nc_u32_e32 v7, 8, v2
	v_add_lshl_u32 v6, v6, v2, 2
	s_waitcnt lgkmcnt(0)
	v_add_f32_e32 v5, v3, v5
	v_cndmask_b32_e64 v5, v3, v5, s0
	v_lshlrev_b32_e32 v3, 2, v2
	v_cmp_lt_u32_e64 s0, v7, v4
	v_add_nc_u32_e32 v7, 16, v2
	ds_bpermute_b32 v6, v6, v5
	v_or_b32_e32 v8, 64, v3
	s_waitcnt lgkmcnt(0)
	v_add_f32_e32 v6, v5, v6
	v_cndmask_b32_e64 v5, v5, v6, s0
	v_cmp_lt_u32_e64 s0, v7, v4
	ds_bpermute_b32 v6, v8, v5
	s_waitcnt lgkmcnt(0)
	v_add_f32_e32 v6, v5, v6
	v_cndmask_b32_e64 v4, v5, v6, s0
	s_mov_b32 s0, exec_lo
	v_cndmask_b32_e32 v1, v1, v4, vcc_lo
	v_cmpx_eq_u32_e32 0, v2
; %bb.458:
	v_lshrrev_b32_e32 v4, 3, v0
	v_and_b32_e32 v4, 28, v4
	ds_write_b32 v4, v1 offset:192
; %bb.459:
	s_or_b32 exec_lo, exec_lo, s0
	s_mov_b32 s2, exec_lo
	s_waitcnt lgkmcnt(0)
	s_barrier
	buffer_gl0_inv
	v_cmpx_gt_u32_e32 8, v0
	s_cbranch_execz .LBB35_461
; %bb.460:
	ds_read_b32 v1, v3 offset:192
	v_and_b32_e32 v4, 7, v2
	s_add_i32 s1, s1, 31
	v_or_b32_e32 v3, 16, v3
	s_lshr_b32 s1, s1, 5
	v_cmp_ne_u32_e32 vcc_lo, 7, v4
	v_add_nc_u32_e32 v7, 1, v4
	v_add_co_ci_u32_e64 v5, null, 0, v2, vcc_lo
	v_cmp_gt_u32_e32 vcc_lo, 6, v4
	v_lshlrev_b32_e32 v5, 2, v5
	v_cndmask_b32_e64 v6, 0, 2, vcc_lo
	v_cmp_gt_u32_e32 vcc_lo, s1, v7
	s_waitcnt lgkmcnt(0)
	ds_bpermute_b32 v5, v5, v1
	v_add_lshl_u32 v2, v6, v2, 2
	v_add_nc_u32_e32 v6, 2, v4
	v_add_nc_u32_e32 v4, 4, v4
	v_cmp_gt_u32_e64 s0, s1, v6
	s_waitcnt lgkmcnt(0)
	v_add_f32_e32 v5, v1, v5
	v_cndmask_b32_e32 v5, v1, v5, vcc_lo
	ds_bpermute_b32 v2, v2, v5
	s_waitcnt lgkmcnt(0)
	v_add_f32_e32 v2, v5, v2
	v_cndmask_b32_e64 v2, v5, v2, s0
	v_cmp_gt_u32_e64 s0, s1, v4
	ds_bpermute_b32 v3, v3, v2
	s_waitcnt lgkmcnt(0)
	v_add_f32_e32 v3, v2, v3
	v_cndmask_b32_e64 v2, v2, v3, s0
	v_cndmask_b32_e32 v1, v1, v2, vcc_lo
.LBB35_461:
	s_or_b32 exec_lo, exec_lo, s2
.LBB35_462:
	v_cmp_eq_u32_e64 s0, 0, v0
	s_branch .LBB35_474
.LBB35_463:
	s_cmp_eq_u32 s38, 1
	s_cbranch_scc0 .LBB35_473
; %bb.464:
	s_mov_b32 s7, 0
	s_lshr_b64 s[0:1], s[40:41], 8
	s_lshl_b32 s2, s6, 8
	s_cmp_lg_u64 s[0:1], s[6:7]
	s_cbranch_scc0 .LBB35_477
; %bb.465:
	v_add3_u32 v1, s39, s2, v0
	s_movk_i32 s3, 0x2710
	v_lshlrev_b32_e32 v2, 12, v1
	v_add3_u32 v1, v1, v2, 0x7ed55d16
	v_lshrrev_b32_e32 v2, 19, v1
	v_xor3_b32 v1, v1, v2, 0xc761c23c
	v_lshl_add_u32 v1, v1, 5, v1
	v_add_nc_u32_e32 v2, 0xe9f8cc1d, v1
	v_lshl_add_u32 v1, v1, 9, 0xaccf6200
	v_xor_b32_e32 v1, v2, v1
	v_lshlrev_b32_e32 v2, 3, v1
	v_add3_u32 v1, v1, v2, 0xfd7046c5
	v_lshrrev_b32_e32 v2, 16, v1
	v_xor3_b32 v1, v1, v2, 0xb55a4f09
	v_mul_hi_u32 v2, v1, 3
	v_sub_nc_u32_e32 v3, v1, v2
	v_lshrrev_b32_e32 v3, 1, v3
	v_add_nc_u32_e32 v2, v3, v2
	v_lshrrev_b32_e32 v2, 30, v2
	v_mul_lo_u32 v2, 0x7fffffff, v2
	v_sub_nc_u32_e32 v1, v1, v2
	v_max_u32_e32 v2, 1, v1
	v_mov_b32_e32 v1, 0
.LBB35_466:                             ; =>This Inner Loop Header: Depth=1
	v_mul_hi_u32 v3, 0xbc8f1391, v2
	s_add_i32 s3, s3, -2
	s_cmp_lg_u32 s3, 0
	v_lshrrev_b32_e32 v3, 15, v3
	v_mul_u32_u24_e32 v4, 0xadc8, v3
	v_mul_u32_u24_e32 v3, 0xd47, v3
	v_sub_nc_u32_e32 v2, v2, v4
	v_xor_b32_e32 v4, 0x7fffffff, v3
	v_sub_nc_u32_e32 v5, 0, v3
	v_mul_lo_u32 v2, 0xbc8f, v2
	v_cmp_lt_u32_e32 vcc_lo, v2, v3
	v_cndmask_b32_e32 v3, v5, v4, vcc_lo
	v_add_nc_u32_e32 v2, v3, v2
	v_mul_hi_u32 v3, 0xbc8f1391, v2
	v_lshrrev_b32_e32 v3, 15, v3
	v_mul_u32_u24_e32 v4, 0xadc8, v3
	v_mul_u32_u24_e32 v3, 0xd47, v3
	v_sub_nc_u32_e32 v4, v2, v4
	v_xor_b32_e32 v5, 0x7fffffff, v3
	v_sub_nc_u32_e32 v6, 0, v3
	v_add_nc_u32_e32 v2, -1, v2
	v_mul_lo_u32 v4, 0xbc8f, v4
	v_cvt_f32_u32_e32 v2, v2
	v_cmp_lt_u32_e32 vcc_lo, v4, v3
	v_cndmask_b32_e32 v3, v6, v5, vcc_lo
	v_add_nc_u32_e32 v3, v3, v4
	v_mul_hi_u32 v4, 0xbc8f1391, v3
	v_lshrrev_b32_e32 v4, 15, v4
	v_mul_u32_u24_e32 v5, 0xadc8, v4
	v_mul_u32_u24_e32 v4, 0xd47, v4
	v_sub_nc_u32_e32 v5, v3, v5
	v_xor_b32_e32 v6, 0x7fffffff, v4
	v_sub_nc_u32_e32 v7, 0, v4
	v_add_nc_u32_e32 v3, -1, v3
	v_mul_lo_u32 v5, 0xbc8f, v5
	v_cvt_f32_u32_e32 v3, v3
	v_fma_f32 v3, 0x30000000, v3, 0
	v_cmp_lt_u32_e32 vcc_lo, v5, v4
	v_mul_f32_e32 v3, v3, v3
	v_cndmask_b32_e32 v4, v7, v6, vcc_lo
	v_fma_f32 v6, 0x30000000, v2, 0
	v_add_nc_u32_e32 v4, v4, v5
	v_fmac_f32_e32 v3, v6, v6
	v_mul_hi_u32 v5, 0xbc8f1391, v4
	v_mul_f32_e32 v6, 0x4f800000, v3
	v_lshrrev_b32_e32 v2, 15, v5
	v_mul_u32_u24_e32 v5, 0xadc8, v2
	v_mul_u32_u24_e32 v2, 0xd47, v2
	v_sub_nc_u32_e32 v5, v4, v5
	v_xor_b32_e32 v7, 0x7fffffff, v2
	v_sub_nc_u32_e32 v8, 0, v2
	v_add_nc_u32_e32 v4, -1, v4
	v_mul_lo_u32 v5, 0xbc8f, v5
	v_cvt_f32_u32_e32 v4, v4
	v_fma_f32 v4, 0x30000000, v4, 0
	v_cmp_lt_u32_e32 vcc_lo, v5, v2
	v_cndmask_b32_e32 v2, v8, v7, vcc_lo
	v_cmp_gt_f32_e32 vcc_lo, 0xf800000, v3
	v_add_f32_e32 v7, 1.0, v1
	v_add_nc_u32_e32 v2, v2, v5
	v_cndmask_b32_e32 v3, v3, v6, vcc_lo
	v_add_nc_u32_e32 v5, -1, v2
	v_cvt_f32_u32_e32 v5, v5
	v_fma_f32 v5, 0x30000000, v5, 0
	v_mul_f32_e32 v5, v5, v5
	v_fmac_f32_e32 v5, v4, v4
	v_sqrt_f32_e32 v4, v3
	v_mul_f32_e32 v6, 0x4f800000, v5
	v_cmp_gt_f32_e64 s0, 0xf800000, v5
	v_cndmask_b32_e64 v5, v5, v6, s0
	v_add_nc_u32_e32 v6, -1, v4
	v_add_nc_u32_e32 v8, 1, v4
	v_sqrt_f32_e32 v9, v5
	v_fma_f32 v10, -v6, v4, v3
	v_fma_f32 v11, -v8, v4, v3
	v_cmp_ge_f32_e64 s1, 0, v10
	v_cndmask_b32_e64 v4, v4, v6, s1
	v_cmp_lt_f32_e64 s1, 0, v11
	v_add_nc_u32_e32 v6, -1, v9
	v_cndmask_b32_e64 v4, v4, v8, s1
	v_add_nc_u32_e32 v8, 1, v9
	v_fma_f32 v10, -v6, v9, v5
	v_mul_f32_e32 v11, 0x37800000, v4
	v_fma_f32 v12, -v8, v9, v5
	v_cmp_ge_f32_e64 s1, 0, v10
	v_cndmask_b32_e32 v4, v4, v11, vcc_lo
	v_cmp_class_f32_e64 vcc_lo, v3, 0x260
	v_cndmask_b32_e64 v6, v9, v6, s1
	v_cmp_lt_f32_e64 s1, 0, v12
	v_cndmask_b32_e32 v3, v4, v3, vcc_lo
	v_cndmask_b32_e64 v6, v6, v8, s1
	v_cmp_nge_f32_e32 vcc_lo, 1.0, v3
	v_mul_f32_e32 v4, 0x37800000, v6
	v_cndmask_b32_e32 v1, v7, v1, vcc_lo
	v_cmp_class_f32_e64 vcc_lo, v5, 0x260
	v_cndmask_b32_e64 v3, v6, v4, s0
	v_add_f32_e32 v4, 1.0, v1
	v_cndmask_b32_e32 v3, v3, v5, vcc_lo
	v_cmp_nge_f32_e32 vcc_lo, 1.0, v3
	v_cndmask_b32_e32 v1, v4, v1, vcc_lo
	s_cbranch_scc1 .LBB35_466
; %bb.467:
	v_mul_f32_e32 v1, 4.0, v1
	s_mov_b32 s0, exec_lo
	v_div_scale_f32 v2, null, 0x461c4000, 0x461c4000, v1
	v_div_scale_f32 v5, vcc_lo, v1, 0x461c4000, v1
	v_rcp_f32_e32 v3, v2
	v_fma_f32 v4, -v2, v3, 1.0
	v_fmac_f32_e32 v3, v4, v3
	v_mul_f32_e32 v4, v5, v3
	v_fma_f32 v6, -v2, v4, v5
	v_fmac_f32_e32 v4, v6, v3
	v_fma_f32 v2, -v2, v4, v5
	v_div_fmas_f32 v2, v2, v3, v4
	v_div_fixup_f32 v1, v2, 0x461c4000, v1
	v_mov_b32_dpp v2, v1 quad_perm:[1,0,3,2] row_mask:0xf bank_mask:0xf
	v_add_f32_e32 v1, v1, v2
	v_mov_b32_dpp v2, v1 quad_perm:[2,3,0,1] row_mask:0xf bank_mask:0xf
	v_add_f32_e32 v1, v1, v2
	v_mov_b32_dpp v2, v1 row_ror:4 row_mask:0xf bank_mask:0xf
	v_add_f32_e32 v1, v1, v2
	v_mov_b32_dpp v2, v1 row_ror:8 row_mask:0xf bank_mask:0xf
	v_add_f32_e32 v1, v1, v2
	ds_swizzle_b32 v2, v1 offset:swizzle(BROADCAST,32,15)
	s_waitcnt lgkmcnt(0)
	v_add_f32_e32 v1, v1, v2
	v_mov_b32_e32 v2, 0
	ds_bpermute_b32 v1, v2, v1 offset:124
	v_mbcnt_lo_u32_b32 v2, -1, 0
	v_cmpx_eq_u32_e32 0, v2
	s_cbranch_execz .LBB35_469
; %bb.468:
	v_lshrrev_b32_e32 v3, 3, v0
	v_and_b32_e32 v3, 28, v3
	s_waitcnt lgkmcnt(0)
	ds_write_b32 v3, v1 offset:32
.LBB35_469:
	s_or_b32 exec_lo, exec_lo, s0
	s_mov_b32 s0, exec_lo
	s_waitcnt lgkmcnt(0)
	s_barrier
	buffer_gl0_inv
	v_cmpx_gt_u32_e32 32, v0
	s_cbranch_execz .LBB35_471
; %bb.470:
	v_and_b32_e32 v1, 7, v2
	v_lshlrev_b32_e32 v3, 2, v1
	v_cmp_ne_u32_e32 vcc_lo, 7, v1
	ds_read_b32 v3, v3 offset:32
	v_add_co_ci_u32_e64 v4, null, 0, v2, vcc_lo
	v_cmp_gt_u32_e32 vcc_lo, 6, v1
	v_lshlrev_b32_e32 v4, 2, v4
	v_cndmask_b32_e64 v1, 0, 2, vcc_lo
	v_add_lshl_u32 v1, v1, v2, 2
	v_lshlrev_b32_e32 v2, 2, v2
	v_or_b32_e32 v2, 16, v2
	s_waitcnt lgkmcnt(0)
	ds_bpermute_b32 v4, v4, v3
	s_waitcnt lgkmcnt(0)
	v_add_f32_e32 v3, v3, v4
	ds_bpermute_b32 v1, v1, v3
	s_waitcnt lgkmcnt(0)
	v_add_f32_e32 v1, v3, v1
	;; [unrolled: 3-line block ×3, first 2 shown]
.LBB35_471:
	s_or_b32 exec_lo, exec_lo, s0
.LBB35_472:
	v_cmp_eq_u32_e64 s0, 0, v0
	s_and_saveexec_b32 s1, s0
	s_cbranch_execnz .LBB35_475
	s_branch .LBB35_476
.LBB35_473:
                                        ; implicit-def: $vgpr1
                                        ; implicit-def: $sgpr6_sgpr7
.LBB35_474:
	s_and_saveexec_b32 s1, s0
	s_cbranch_execz .LBB35_476
.LBB35_475:
	s_load_dword s2, s[4:5], 0x20
	s_lshl_b64 s[0:1], s[6:7], 2
	s_add_u32 s0, s42, s0
	s_addc_u32 s1, s43, s1
	s_cmp_eq_u64 s[40:41], 0
	s_cselect_b32 s3, -1, 0
	s_waitcnt lgkmcnt(0)
	v_add_f32_e32 v0, s2, v1
	v_mov_b32_e32 v1, 0
	v_cndmask_b32_e64 v0, v0, s2, s3
	global_store_dword v1, v0, s[0:1]
.LBB35_476:
	s_endpgm
.LBB35_477:
                                        ; implicit-def: $vgpr1
	s_cbranch_execz .LBB35_472
; %bb.478:
	s_sub_i32 s3, s40, s2
	s_mov_b32 s8, exec_lo
                                        ; implicit-def: $vgpr1
	v_cmpx_gt_u32_e64 s3, v0
	s_cbranch_execz .LBB35_482
; %bb.479:
	v_add3_u32 v1, s39, s2, v0
	s_movk_i32 s2, 0x2710
	v_lshlrev_b32_e32 v2, 12, v1
	v_add3_u32 v1, v1, v2, 0x7ed55d16
	v_lshrrev_b32_e32 v2, 19, v1
	v_xor3_b32 v1, v1, v2, 0xc761c23c
	v_lshl_add_u32 v1, v1, 5, v1
	v_add_nc_u32_e32 v2, 0xe9f8cc1d, v1
	v_lshl_add_u32 v1, v1, 9, 0xaccf6200
	v_xor_b32_e32 v1, v2, v1
	v_lshlrev_b32_e32 v2, 3, v1
	v_add3_u32 v1, v1, v2, 0xfd7046c5
	v_lshrrev_b32_e32 v2, 16, v1
	v_xor3_b32 v1, v1, v2, 0xb55a4f09
	v_mul_hi_u32 v2, v1, 3
	v_sub_nc_u32_e32 v3, v1, v2
	v_lshrrev_b32_e32 v3, 1, v3
	v_add_nc_u32_e32 v2, v3, v2
	v_lshrrev_b32_e32 v2, 30, v2
	v_mul_lo_u32 v2, 0x7fffffff, v2
	v_sub_nc_u32_e32 v1, v1, v2
	v_max_u32_e32 v2, 1, v1
	v_mov_b32_e32 v1, 0
.LBB35_480:                             ; =>This Inner Loop Header: Depth=1
	v_mul_hi_u32 v3, 0xbc8f1391, v2
	s_add_i32 s2, s2, -2
	s_cmp_lg_u32 s2, 0
	v_lshrrev_b32_e32 v3, 15, v3
	v_mul_u32_u24_e32 v4, 0xadc8, v3
	v_mul_u32_u24_e32 v3, 0xd47, v3
	v_sub_nc_u32_e32 v2, v2, v4
	v_xor_b32_e32 v4, 0x7fffffff, v3
	v_sub_nc_u32_e32 v5, 0, v3
	v_mul_lo_u32 v2, 0xbc8f, v2
	v_cmp_lt_u32_e32 vcc_lo, v2, v3
	v_cndmask_b32_e32 v3, v5, v4, vcc_lo
	v_add_nc_u32_e32 v2, v3, v2
	v_mul_hi_u32 v3, 0xbc8f1391, v2
	v_lshrrev_b32_e32 v3, 15, v3
	v_mul_u32_u24_e32 v4, 0xadc8, v3
	v_mul_u32_u24_e32 v3, 0xd47, v3
	v_sub_nc_u32_e32 v4, v2, v4
	v_xor_b32_e32 v5, 0x7fffffff, v3
	v_sub_nc_u32_e32 v6, 0, v3
	v_add_nc_u32_e32 v2, -1, v2
	v_mul_lo_u32 v4, 0xbc8f, v4
	v_cvt_f32_u32_e32 v2, v2
	v_cmp_lt_u32_e32 vcc_lo, v4, v3
	v_cndmask_b32_e32 v3, v6, v5, vcc_lo
	v_add_nc_u32_e32 v3, v3, v4
	v_mul_hi_u32 v4, 0xbc8f1391, v3
	v_lshrrev_b32_e32 v4, 15, v4
	v_mul_u32_u24_e32 v5, 0xadc8, v4
	v_mul_u32_u24_e32 v4, 0xd47, v4
	v_sub_nc_u32_e32 v5, v3, v5
	v_xor_b32_e32 v6, 0x7fffffff, v4
	v_sub_nc_u32_e32 v7, 0, v4
	v_add_nc_u32_e32 v3, -1, v3
	v_mul_lo_u32 v5, 0xbc8f, v5
	v_cvt_f32_u32_e32 v3, v3
	v_fma_f32 v3, 0x30000000, v3, 0
	v_cmp_lt_u32_e32 vcc_lo, v5, v4
	v_mul_f32_e32 v3, v3, v3
	v_cndmask_b32_e32 v4, v7, v6, vcc_lo
	v_fma_f32 v6, 0x30000000, v2, 0
	v_add_nc_u32_e32 v4, v4, v5
	v_fmac_f32_e32 v3, v6, v6
	v_mul_hi_u32 v5, 0xbc8f1391, v4
	v_mul_f32_e32 v6, 0x4f800000, v3
	v_lshrrev_b32_e32 v2, 15, v5
	v_mul_u32_u24_e32 v5, 0xadc8, v2
	v_mul_u32_u24_e32 v2, 0xd47, v2
	v_sub_nc_u32_e32 v5, v4, v5
	v_xor_b32_e32 v7, 0x7fffffff, v2
	v_sub_nc_u32_e32 v8, 0, v2
	v_add_nc_u32_e32 v4, -1, v4
	v_mul_lo_u32 v5, 0xbc8f, v5
	v_cvt_f32_u32_e32 v4, v4
	v_fma_f32 v4, 0x30000000, v4, 0
	v_cmp_lt_u32_e32 vcc_lo, v5, v2
	v_cndmask_b32_e32 v2, v8, v7, vcc_lo
	v_cmp_gt_f32_e32 vcc_lo, 0xf800000, v3
	v_add_f32_e32 v7, 1.0, v1
	v_add_nc_u32_e32 v2, v2, v5
	v_cndmask_b32_e32 v3, v3, v6, vcc_lo
	v_add_nc_u32_e32 v5, -1, v2
	v_cvt_f32_u32_e32 v5, v5
	v_fma_f32 v5, 0x30000000, v5, 0
	v_mul_f32_e32 v5, v5, v5
	v_fmac_f32_e32 v5, v4, v4
	v_sqrt_f32_e32 v4, v3
	v_mul_f32_e32 v6, 0x4f800000, v5
	v_cmp_gt_f32_e64 s0, 0xf800000, v5
	v_cndmask_b32_e64 v5, v5, v6, s0
	v_add_nc_u32_e32 v6, -1, v4
	v_add_nc_u32_e32 v8, 1, v4
	v_sqrt_f32_e32 v9, v5
	v_fma_f32 v10, -v6, v4, v3
	v_fma_f32 v11, -v8, v4, v3
	v_cmp_ge_f32_e64 s1, 0, v10
	v_cndmask_b32_e64 v4, v4, v6, s1
	v_cmp_lt_f32_e64 s1, 0, v11
	v_add_nc_u32_e32 v6, -1, v9
	v_cndmask_b32_e64 v4, v4, v8, s1
	v_add_nc_u32_e32 v8, 1, v9
	v_fma_f32 v10, -v6, v9, v5
	v_mul_f32_e32 v11, 0x37800000, v4
	v_fma_f32 v12, -v8, v9, v5
	v_cmp_ge_f32_e64 s1, 0, v10
	v_cndmask_b32_e32 v4, v4, v11, vcc_lo
	v_cmp_class_f32_e64 vcc_lo, v3, 0x260
	v_cndmask_b32_e64 v6, v9, v6, s1
	v_cmp_lt_f32_e64 s1, 0, v12
	v_cndmask_b32_e32 v3, v4, v3, vcc_lo
	v_cndmask_b32_e64 v6, v6, v8, s1
	v_cmp_nge_f32_e32 vcc_lo, 1.0, v3
	v_mul_f32_e32 v4, 0x37800000, v6
	v_cndmask_b32_e32 v1, v7, v1, vcc_lo
	v_cmp_class_f32_e64 vcc_lo, v5, 0x260
	v_cndmask_b32_e64 v3, v6, v4, s0
	v_add_f32_e32 v4, 1.0, v1
	v_cndmask_b32_e32 v3, v3, v5, vcc_lo
	v_cmp_nge_f32_e32 vcc_lo, 1.0, v3
	v_cndmask_b32_e32 v1, v4, v1, vcc_lo
	s_cbranch_scc1 .LBB35_480
; %bb.481:
	v_mul_f32_e32 v1, 4.0, v1
	v_div_scale_f32 v2, null, 0x461c4000, 0x461c4000, v1
	v_rcp_f32_e32 v3, v2
	v_fma_f32 v4, -v2, v3, 1.0
	v_fmac_f32_e32 v3, v4, v3
	v_div_scale_f32 v4, vcc_lo, v1, 0x461c4000, v1
	v_mul_f32_e32 v5, v4, v3
	v_fma_f32 v6, -v2, v5, v4
	v_fmac_f32_e32 v5, v6, v3
	v_fma_f32 v2, -v2, v5, v4
	v_div_fmas_f32 v2, v2, v3, v5
	v_div_fixup_f32 v1, v2, 0x461c4000, v1
.LBB35_482:
	s_or_b32 exec_lo, exec_lo, s8
	v_mbcnt_lo_u32_b32 v2, -1, 0
	v_and_b32_e32 v4, 0xe0, v0
	s_min_u32 s1, s3, 0x100
	v_cmp_ne_u32_e32 vcc_lo, 31, v2
	v_sub_nc_u32_e64 v4, s1, v4 clamp
	v_add_nc_u32_e32 v6, 1, v2
	v_cmp_gt_u32_e64 s0, 28, v2
	v_add_nc_u32_e32 v7, 2, v2
	v_add_co_ci_u32_e64 v3, null, 0, v2, vcc_lo
	v_cmp_gt_u32_e32 vcc_lo, 30, v2
	v_lshlrev_b32_e32 v3, 2, v3
	v_cndmask_b32_e64 v5, 0, 2, vcc_lo
	v_cmp_lt_u32_e32 vcc_lo, v6, v4
	v_cndmask_b32_e64 v6, 0, 4, s0
	ds_bpermute_b32 v3, v3, v1
	v_cmp_lt_u32_e64 s0, v7, v4
	v_add_lshl_u32 v5, v5, v2, 2
	v_add_nc_u32_e32 v7, 4, v2
	v_add_lshl_u32 v6, v6, v2, 2
	s_waitcnt lgkmcnt(0)
	v_add_f32_e32 v3, v1, v3
	v_cndmask_b32_e32 v3, v1, v3, vcc_lo
	ds_bpermute_b32 v5, v5, v3
	s_waitcnt lgkmcnt(0)
	v_add_f32_e32 v5, v3, v5
	v_cndmask_b32_e64 v3, v3, v5, s0
	v_cmp_gt_u32_e64 s0, 24, v2
	ds_bpermute_b32 v5, v6, v3
	v_cndmask_b32_e64 v6, 0, 8, s0
	v_cmp_lt_u32_e64 s0, v7, v4
	v_add_nc_u32_e32 v7, 8, v2
	v_add_lshl_u32 v6, v6, v2, 2
	s_waitcnt lgkmcnt(0)
	v_add_f32_e32 v5, v3, v5
	v_cndmask_b32_e64 v5, v3, v5, s0
	v_lshlrev_b32_e32 v3, 2, v2
	v_cmp_lt_u32_e64 s0, v7, v4
	v_add_nc_u32_e32 v7, 16, v2
	ds_bpermute_b32 v6, v6, v5
	v_or_b32_e32 v8, 64, v3
	s_waitcnt lgkmcnt(0)
	v_add_f32_e32 v6, v5, v6
	v_cndmask_b32_e64 v5, v5, v6, s0
	v_cmp_lt_u32_e64 s0, v7, v4
	ds_bpermute_b32 v6, v8, v5
	s_waitcnt lgkmcnt(0)
	v_add_f32_e32 v6, v5, v6
	v_cndmask_b32_e64 v4, v5, v6, s0
	s_mov_b32 s0, exec_lo
	v_cndmask_b32_e32 v1, v1, v4, vcc_lo
	v_cmpx_eq_u32_e32 0, v2
; %bb.483:
	v_lshrrev_b32_e32 v4, 3, v0
	v_and_b32_e32 v4, 28, v4
	ds_write_b32 v4, v1 offset:192
; %bb.484:
	s_or_b32 exec_lo, exec_lo, s0
	s_mov_b32 s2, exec_lo
	s_waitcnt lgkmcnt(0)
	s_barrier
	buffer_gl0_inv
	v_cmpx_gt_u32_e32 8, v0
	s_cbranch_execz .LBB35_486
; %bb.485:
	ds_read_b32 v1, v3 offset:192
	v_and_b32_e32 v4, 7, v2
	s_add_i32 s1, s1, 31
	v_or_b32_e32 v3, 16, v3
	s_lshr_b32 s1, s1, 5
	v_cmp_ne_u32_e32 vcc_lo, 7, v4
	v_add_nc_u32_e32 v7, 1, v4
	v_add_co_ci_u32_e64 v5, null, 0, v2, vcc_lo
	v_cmp_gt_u32_e32 vcc_lo, 6, v4
	v_lshlrev_b32_e32 v5, 2, v5
	v_cndmask_b32_e64 v6, 0, 2, vcc_lo
	v_cmp_gt_u32_e32 vcc_lo, s1, v7
	s_waitcnt lgkmcnt(0)
	ds_bpermute_b32 v5, v5, v1
	v_add_lshl_u32 v2, v6, v2, 2
	v_add_nc_u32_e32 v6, 2, v4
	v_add_nc_u32_e32 v4, 4, v4
	v_cmp_gt_u32_e64 s0, s1, v6
	s_waitcnt lgkmcnt(0)
	v_add_f32_e32 v5, v1, v5
	v_cndmask_b32_e32 v5, v1, v5, vcc_lo
	ds_bpermute_b32 v2, v2, v5
	s_waitcnt lgkmcnt(0)
	v_add_f32_e32 v2, v5, v2
	v_cndmask_b32_e64 v2, v5, v2, s0
	v_cmp_gt_u32_e64 s0, s1, v4
	ds_bpermute_b32 v3, v3, v2
	s_waitcnt lgkmcnt(0)
	v_add_f32_e32 v3, v2, v3
	v_cndmask_b32_e64 v2, v2, v3, s0
	v_cndmask_b32_e32 v1, v1, v2, vcc_lo
.LBB35_486:
	s_or_b32 exec_lo, exec_lo, s2
	v_cmp_eq_u32_e64 s0, 0, v0
	s_and_saveexec_b32 s1, s0
	s_cbranch_execnz .LBB35_475
	s_branch .LBB35_476
	.section	.rodata,"a",@progbits
	.p2align	6, 0x0
	.amdhsa_kernel _ZN7rocprim17ROCPRIM_400000_NS6detail17trampoline_kernelINS0_14default_configENS1_22reduce_config_selectorIfEEZNS1_11reduce_implILb1ES3_N6thrust23THRUST_200600_302600_NS11hip_rocprim26transform_input_iterator_tIfNS8_17counting_iteratorIiNS8_11use_defaultESC_SC_EE11estimate_piEEPffNS8_4plusIfEEEE10hipError_tPvRmT1_T2_T3_mT4_P12ihipStream_tbEUlT_E1_NS1_11comp_targetILNS1_3genE8ELNS1_11target_archE1030ELNS1_3gpuE2ELNS1_3repE0EEENS1_30default_config_static_selectorELNS0_4arch9wavefront6targetE0EEEvSM_
		.amdhsa_group_segment_fixed_size 224
		.amdhsa_private_segment_fixed_size 0
		.amdhsa_kernarg_size 40
		.amdhsa_user_sgpr_count 6
		.amdhsa_user_sgpr_private_segment_buffer 1
		.amdhsa_user_sgpr_dispatch_ptr 0
		.amdhsa_user_sgpr_queue_ptr 0
		.amdhsa_user_sgpr_kernarg_segment_ptr 1
		.amdhsa_user_sgpr_dispatch_id 0
		.amdhsa_user_sgpr_flat_scratch_init 0
		.amdhsa_user_sgpr_private_segment_size 0
		.amdhsa_wavefront_size32 1
		.amdhsa_uses_dynamic_stack 0
		.amdhsa_system_sgpr_private_segment_wavefront_offset 0
		.amdhsa_system_sgpr_workgroup_id_x 1
		.amdhsa_system_sgpr_workgroup_id_y 0
		.amdhsa_system_sgpr_workgroup_id_z 0
		.amdhsa_system_sgpr_workgroup_info 0
		.amdhsa_system_vgpr_workitem_id 0
		.amdhsa_next_free_vgpr 62
		.amdhsa_next_free_sgpr 48
		.amdhsa_reserve_vcc 1
		.amdhsa_reserve_flat_scratch 0
		.amdhsa_float_round_mode_32 0
		.amdhsa_float_round_mode_16_64 0
		.amdhsa_float_denorm_mode_32 3
		.amdhsa_float_denorm_mode_16_64 3
		.amdhsa_dx10_clamp 1
		.amdhsa_ieee_mode 1
		.amdhsa_fp16_overflow 0
		.amdhsa_workgroup_processor_mode 1
		.amdhsa_memory_ordered 1
		.amdhsa_forward_progress 1
		.amdhsa_shared_vgpr_count 0
		.amdhsa_exception_fp_ieee_invalid_op 0
		.amdhsa_exception_fp_denorm_src 0
		.amdhsa_exception_fp_ieee_div_zero 0
		.amdhsa_exception_fp_ieee_overflow 0
		.amdhsa_exception_fp_ieee_underflow 0
		.amdhsa_exception_fp_ieee_inexact 0
		.amdhsa_exception_int_div_zero 0
	.end_amdhsa_kernel
	.section	.text._ZN7rocprim17ROCPRIM_400000_NS6detail17trampoline_kernelINS0_14default_configENS1_22reduce_config_selectorIfEEZNS1_11reduce_implILb1ES3_N6thrust23THRUST_200600_302600_NS11hip_rocprim26transform_input_iterator_tIfNS8_17counting_iteratorIiNS8_11use_defaultESC_SC_EE11estimate_piEEPffNS8_4plusIfEEEE10hipError_tPvRmT1_T2_T3_mT4_P12ihipStream_tbEUlT_E1_NS1_11comp_targetILNS1_3genE8ELNS1_11target_archE1030ELNS1_3gpuE2ELNS1_3repE0EEENS1_30default_config_static_selectorELNS0_4arch9wavefront6targetE0EEEvSM_,"axG",@progbits,_ZN7rocprim17ROCPRIM_400000_NS6detail17trampoline_kernelINS0_14default_configENS1_22reduce_config_selectorIfEEZNS1_11reduce_implILb1ES3_N6thrust23THRUST_200600_302600_NS11hip_rocprim26transform_input_iterator_tIfNS8_17counting_iteratorIiNS8_11use_defaultESC_SC_EE11estimate_piEEPffNS8_4plusIfEEEE10hipError_tPvRmT1_T2_T3_mT4_P12ihipStream_tbEUlT_E1_NS1_11comp_targetILNS1_3genE8ELNS1_11target_archE1030ELNS1_3gpuE2ELNS1_3repE0EEENS1_30default_config_static_selectorELNS0_4arch9wavefront6targetE0EEEvSM_,comdat
.Lfunc_end35:
	.size	_ZN7rocprim17ROCPRIM_400000_NS6detail17trampoline_kernelINS0_14default_configENS1_22reduce_config_selectorIfEEZNS1_11reduce_implILb1ES3_N6thrust23THRUST_200600_302600_NS11hip_rocprim26transform_input_iterator_tIfNS8_17counting_iteratorIiNS8_11use_defaultESC_SC_EE11estimate_piEEPffNS8_4plusIfEEEE10hipError_tPvRmT1_T2_T3_mT4_P12ihipStream_tbEUlT_E1_NS1_11comp_targetILNS1_3genE8ELNS1_11target_archE1030ELNS1_3gpuE2ELNS1_3repE0EEENS1_30default_config_static_selectorELNS0_4arch9wavefront6targetE0EEEvSM_, .Lfunc_end35-_ZN7rocprim17ROCPRIM_400000_NS6detail17trampoline_kernelINS0_14default_configENS1_22reduce_config_selectorIfEEZNS1_11reduce_implILb1ES3_N6thrust23THRUST_200600_302600_NS11hip_rocprim26transform_input_iterator_tIfNS8_17counting_iteratorIiNS8_11use_defaultESC_SC_EE11estimate_piEEPffNS8_4plusIfEEEE10hipError_tPvRmT1_T2_T3_mT4_P12ihipStream_tbEUlT_E1_NS1_11comp_targetILNS1_3genE8ELNS1_11target_archE1030ELNS1_3gpuE2ELNS1_3repE0EEENS1_30default_config_static_selectorELNS0_4arch9wavefront6targetE0EEEvSM_
                                        ; -- End function
	.set _ZN7rocprim17ROCPRIM_400000_NS6detail17trampoline_kernelINS0_14default_configENS1_22reduce_config_selectorIfEEZNS1_11reduce_implILb1ES3_N6thrust23THRUST_200600_302600_NS11hip_rocprim26transform_input_iterator_tIfNS8_17counting_iteratorIiNS8_11use_defaultESC_SC_EE11estimate_piEEPffNS8_4plusIfEEEE10hipError_tPvRmT1_T2_T3_mT4_P12ihipStream_tbEUlT_E1_NS1_11comp_targetILNS1_3genE8ELNS1_11target_archE1030ELNS1_3gpuE2ELNS1_3repE0EEENS1_30default_config_static_selectorELNS0_4arch9wavefront6targetE0EEEvSM_.num_vgpr, 62
	.set _ZN7rocprim17ROCPRIM_400000_NS6detail17trampoline_kernelINS0_14default_configENS1_22reduce_config_selectorIfEEZNS1_11reduce_implILb1ES3_N6thrust23THRUST_200600_302600_NS11hip_rocprim26transform_input_iterator_tIfNS8_17counting_iteratorIiNS8_11use_defaultESC_SC_EE11estimate_piEEPffNS8_4plusIfEEEE10hipError_tPvRmT1_T2_T3_mT4_P12ihipStream_tbEUlT_E1_NS1_11comp_targetILNS1_3genE8ELNS1_11target_archE1030ELNS1_3gpuE2ELNS1_3repE0EEENS1_30default_config_static_selectorELNS0_4arch9wavefront6targetE0EEEvSM_.num_agpr, 0
	.set _ZN7rocprim17ROCPRIM_400000_NS6detail17trampoline_kernelINS0_14default_configENS1_22reduce_config_selectorIfEEZNS1_11reduce_implILb1ES3_N6thrust23THRUST_200600_302600_NS11hip_rocprim26transform_input_iterator_tIfNS8_17counting_iteratorIiNS8_11use_defaultESC_SC_EE11estimate_piEEPffNS8_4plusIfEEEE10hipError_tPvRmT1_T2_T3_mT4_P12ihipStream_tbEUlT_E1_NS1_11comp_targetILNS1_3genE8ELNS1_11target_archE1030ELNS1_3gpuE2ELNS1_3repE0EEENS1_30default_config_static_selectorELNS0_4arch9wavefront6targetE0EEEvSM_.numbered_sgpr, 48
	.set _ZN7rocprim17ROCPRIM_400000_NS6detail17trampoline_kernelINS0_14default_configENS1_22reduce_config_selectorIfEEZNS1_11reduce_implILb1ES3_N6thrust23THRUST_200600_302600_NS11hip_rocprim26transform_input_iterator_tIfNS8_17counting_iteratorIiNS8_11use_defaultESC_SC_EE11estimate_piEEPffNS8_4plusIfEEEE10hipError_tPvRmT1_T2_T3_mT4_P12ihipStream_tbEUlT_E1_NS1_11comp_targetILNS1_3genE8ELNS1_11target_archE1030ELNS1_3gpuE2ELNS1_3repE0EEENS1_30default_config_static_selectorELNS0_4arch9wavefront6targetE0EEEvSM_.num_named_barrier, 0
	.set _ZN7rocprim17ROCPRIM_400000_NS6detail17trampoline_kernelINS0_14default_configENS1_22reduce_config_selectorIfEEZNS1_11reduce_implILb1ES3_N6thrust23THRUST_200600_302600_NS11hip_rocprim26transform_input_iterator_tIfNS8_17counting_iteratorIiNS8_11use_defaultESC_SC_EE11estimate_piEEPffNS8_4plusIfEEEE10hipError_tPvRmT1_T2_T3_mT4_P12ihipStream_tbEUlT_E1_NS1_11comp_targetILNS1_3genE8ELNS1_11target_archE1030ELNS1_3gpuE2ELNS1_3repE0EEENS1_30default_config_static_selectorELNS0_4arch9wavefront6targetE0EEEvSM_.private_seg_size, 0
	.set _ZN7rocprim17ROCPRIM_400000_NS6detail17trampoline_kernelINS0_14default_configENS1_22reduce_config_selectorIfEEZNS1_11reduce_implILb1ES3_N6thrust23THRUST_200600_302600_NS11hip_rocprim26transform_input_iterator_tIfNS8_17counting_iteratorIiNS8_11use_defaultESC_SC_EE11estimate_piEEPffNS8_4plusIfEEEE10hipError_tPvRmT1_T2_T3_mT4_P12ihipStream_tbEUlT_E1_NS1_11comp_targetILNS1_3genE8ELNS1_11target_archE1030ELNS1_3gpuE2ELNS1_3repE0EEENS1_30default_config_static_selectorELNS0_4arch9wavefront6targetE0EEEvSM_.uses_vcc, 1
	.set _ZN7rocprim17ROCPRIM_400000_NS6detail17trampoline_kernelINS0_14default_configENS1_22reduce_config_selectorIfEEZNS1_11reduce_implILb1ES3_N6thrust23THRUST_200600_302600_NS11hip_rocprim26transform_input_iterator_tIfNS8_17counting_iteratorIiNS8_11use_defaultESC_SC_EE11estimate_piEEPffNS8_4plusIfEEEE10hipError_tPvRmT1_T2_T3_mT4_P12ihipStream_tbEUlT_E1_NS1_11comp_targetILNS1_3genE8ELNS1_11target_archE1030ELNS1_3gpuE2ELNS1_3repE0EEENS1_30default_config_static_selectorELNS0_4arch9wavefront6targetE0EEEvSM_.uses_flat_scratch, 0
	.set _ZN7rocprim17ROCPRIM_400000_NS6detail17trampoline_kernelINS0_14default_configENS1_22reduce_config_selectorIfEEZNS1_11reduce_implILb1ES3_N6thrust23THRUST_200600_302600_NS11hip_rocprim26transform_input_iterator_tIfNS8_17counting_iteratorIiNS8_11use_defaultESC_SC_EE11estimate_piEEPffNS8_4plusIfEEEE10hipError_tPvRmT1_T2_T3_mT4_P12ihipStream_tbEUlT_E1_NS1_11comp_targetILNS1_3genE8ELNS1_11target_archE1030ELNS1_3gpuE2ELNS1_3repE0EEENS1_30default_config_static_selectorELNS0_4arch9wavefront6targetE0EEEvSM_.has_dyn_sized_stack, 0
	.set _ZN7rocprim17ROCPRIM_400000_NS6detail17trampoline_kernelINS0_14default_configENS1_22reduce_config_selectorIfEEZNS1_11reduce_implILb1ES3_N6thrust23THRUST_200600_302600_NS11hip_rocprim26transform_input_iterator_tIfNS8_17counting_iteratorIiNS8_11use_defaultESC_SC_EE11estimate_piEEPffNS8_4plusIfEEEE10hipError_tPvRmT1_T2_T3_mT4_P12ihipStream_tbEUlT_E1_NS1_11comp_targetILNS1_3genE8ELNS1_11target_archE1030ELNS1_3gpuE2ELNS1_3repE0EEENS1_30default_config_static_selectorELNS0_4arch9wavefront6targetE0EEEvSM_.has_recursion, 0
	.set _ZN7rocprim17ROCPRIM_400000_NS6detail17trampoline_kernelINS0_14default_configENS1_22reduce_config_selectorIfEEZNS1_11reduce_implILb1ES3_N6thrust23THRUST_200600_302600_NS11hip_rocprim26transform_input_iterator_tIfNS8_17counting_iteratorIiNS8_11use_defaultESC_SC_EE11estimate_piEEPffNS8_4plusIfEEEE10hipError_tPvRmT1_T2_T3_mT4_P12ihipStream_tbEUlT_E1_NS1_11comp_targetILNS1_3genE8ELNS1_11target_archE1030ELNS1_3gpuE2ELNS1_3repE0EEENS1_30default_config_static_selectorELNS0_4arch9wavefront6targetE0EEEvSM_.has_indirect_call, 0
	.section	.AMDGPU.csdata,"",@progbits
; Kernel info:
; codeLenInByte = 119940
; TotalNumSgprs: 50
; NumVgprs: 62
; ScratchSize: 0
; MemoryBound: 0
; FloatMode: 240
; IeeeMode: 1
; LDSByteSize: 224 bytes/workgroup (compile time only)
; SGPRBlocks: 0
; VGPRBlocks: 7
; NumSGPRsForWavesPerEU: 50
; NumVGPRsForWavesPerEU: 62
; Occupancy: 16
; WaveLimiterHint : 0
; COMPUTE_PGM_RSRC2:SCRATCH_EN: 0
; COMPUTE_PGM_RSRC2:USER_SGPR: 6
; COMPUTE_PGM_RSRC2:TRAP_HANDLER: 0
; COMPUTE_PGM_RSRC2:TGID_X_EN: 1
; COMPUTE_PGM_RSRC2:TGID_Y_EN: 0
; COMPUTE_PGM_RSRC2:TGID_Z_EN: 0
; COMPUTE_PGM_RSRC2:TIDIG_COMP_CNT: 0
	.section	.AMDGPU.gpr_maximums,"",@progbits
	.set amdgpu.max_num_vgpr, 0
	.set amdgpu.max_num_agpr, 0
	.set amdgpu.max_num_sgpr, 0
	.section	.AMDGPU.csdata,"",@progbits
	.type	__hip_cuid_f2df60e8bf690e54,@object ; @__hip_cuid_f2df60e8bf690e54
	.section	.bss,"aw",@nobits
	.globl	__hip_cuid_f2df60e8bf690e54
__hip_cuid_f2df60e8bf690e54:
	.byte	0                               ; 0x0
	.size	__hip_cuid_f2df60e8bf690e54, 1

	.ident	"AMD clang version 22.0.0git (https://github.com/RadeonOpenCompute/llvm-project roc-7.2.4 26084 f58b06dce1f9c15707c5f808fd002e18c2accf7e)"
	.section	".note.GNU-stack","",@progbits
	.addrsig
	.addrsig_sym __hip_cuid_f2df60e8bf690e54
	.amdgpu_metadata
---
amdhsa.kernels:
  - .args:
      - .offset:         0
        .size:           56
        .value_kind:     by_value
    .group_segment_fixed_size: 0
    .kernarg_segment_align: 8
    .kernarg_segment_size: 56
    .language:       OpenCL C
    .language_version:
      - 2
      - 0
    .max_flat_workgroup_size: 256
    .name:           _ZN7rocprim17ROCPRIM_400000_NS6detail17trampoline_kernelINS0_14default_configENS1_22reduce_config_selectorIfEEZNS1_11reduce_implILb1ES3_PfS7_fN6thrust23THRUST_200600_302600_NS4plusIfEEEE10hipError_tPvRmT1_T2_T3_mT4_P12ihipStream_tbEUlT_E0_NS1_11comp_targetILNS1_3genE0ELNS1_11target_archE4294967295ELNS1_3gpuE0ELNS1_3repE0EEENS1_30default_config_static_selectorELNS0_4arch9wavefront6targetE0EEEvSF_
    .private_segment_fixed_size: 0
    .sgpr_count:     0
    .sgpr_spill_count: 0
    .symbol:         _ZN7rocprim17ROCPRIM_400000_NS6detail17trampoline_kernelINS0_14default_configENS1_22reduce_config_selectorIfEEZNS1_11reduce_implILb1ES3_PfS7_fN6thrust23THRUST_200600_302600_NS4plusIfEEEE10hipError_tPvRmT1_T2_T3_mT4_P12ihipStream_tbEUlT_E0_NS1_11comp_targetILNS1_3genE0ELNS1_11target_archE4294967295ELNS1_3gpuE0ELNS1_3repE0EEENS1_30default_config_static_selectorELNS0_4arch9wavefront6targetE0EEEvSF_.kd
    .uniform_work_group_size: 1
    .uses_dynamic_stack: false
    .vgpr_count:     0
    .vgpr_spill_count: 0
    .wavefront_size: 32
    .workgroup_processor_mode: 1
  - .args:
      - .offset:         0
        .size:           56
        .value_kind:     by_value
    .group_segment_fixed_size: 0
    .kernarg_segment_align: 8
    .kernarg_segment_size: 56
    .language:       OpenCL C
    .language_version:
      - 2
      - 0
    .max_flat_workgroup_size: 128
    .name:           _ZN7rocprim17ROCPRIM_400000_NS6detail17trampoline_kernelINS0_14default_configENS1_22reduce_config_selectorIfEEZNS1_11reduce_implILb1ES3_PfS7_fN6thrust23THRUST_200600_302600_NS4plusIfEEEE10hipError_tPvRmT1_T2_T3_mT4_P12ihipStream_tbEUlT_E0_NS1_11comp_targetILNS1_3genE5ELNS1_11target_archE942ELNS1_3gpuE9ELNS1_3repE0EEENS1_30default_config_static_selectorELNS0_4arch9wavefront6targetE0EEEvSF_
    .private_segment_fixed_size: 0
    .sgpr_count:     0
    .sgpr_spill_count: 0
    .symbol:         _ZN7rocprim17ROCPRIM_400000_NS6detail17trampoline_kernelINS0_14default_configENS1_22reduce_config_selectorIfEEZNS1_11reduce_implILb1ES3_PfS7_fN6thrust23THRUST_200600_302600_NS4plusIfEEEE10hipError_tPvRmT1_T2_T3_mT4_P12ihipStream_tbEUlT_E0_NS1_11comp_targetILNS1_3genE5ELNS1_11target_archE942ELNS1_3gpuE9ELNS1_3repE0EEENS1_30default_config_static_selectorELNS0_4arch9wavefront6targetE0EEEvSF_.kd
    .uniform_work_group_size: 1
    .uses_dynamic_stack: false
    .vgpr_count:     0
    .vgpr_spill_count: 0
    .wavefront_size: 32
    .workgroup_processor_mode: 1
  - .args:
      - .offset:         0
        .size:           56
        .value_kind:     by_value
    .group_segment_fixed_size: 0
    .kernarg_segment_align: 8
    .kernarg_segment_size: 56
    .language:       OpenCL C
    .language_version:
      - 2
      - 0
    .max_flat_workgroup_size: 128
    .name:           _ZN7rocprim17ROCPRIM_400000_NS6detail17trampoline_kernelINS0_14default_configENS1_22reduce_config_selectorIfEEZNS1_11reduce_implILb1ES3_PfS7_fN6thrust23THRUST_200600_302600_NS4plusIfEEEE10hipError_tPvRmT1_T2_T3_mT4_P12ihipStream_tbEUlT_E0_NS1_11comp_targetILNS1_3genE4ELNS1_11target_archE910ELNS1_3gpuE8ELNS1_3repE0EEENS1_30default_config_static_selectorELNS0_4arch9wavefront6targetE0EEEvSF_
    .private_segment_fixed_size: 0
    .sgpr_count:     0
    .sgpr_spill_count: 0
    .symbol:         _ZN7rocprim17ROCPRIM_400000_NS6detail17trampoline_kernelINS0_14default_configENS1_22reduce_config_selectorIfEEZNS1_11reduce_implILb1ES3_PfS7_fN6thrust23THRUST_200600_302600_NS4plusIfEEEE10hipError_tPvRmT1_T2_T3_mT4_P12ihipStream_tbEUlT_E0_NS1_11comp_targetILNS1_3genE4ELNS1_11target_archE910ELNS1_3gpuE8ELNS1_3repE0EEENS1_30default_config_static_selectorELNS0_4arch9wavefront6targetE0EEEvSF_.kd
    .uniform_work_group_size: 1
    .uses_dynamic_stack: false
    .vgpr_count:     0
    .vgpr_spill_count: 0
    .wavefront_size: 32
    .workgroup_processor_mode: 1
  - .args:
      - .offset:         0
        .size:           56
        .value_kind:     by_value
    .group_segment_fixed_size: 0
    .kernarg_segment_align: 8
    .kernarg_segment_size: 56
    .language:       OpenCL C
    .language_version:
      - 2
      - 0
    .max_flat_workgroup_size: 256
    .name:           _ZN7rocprim17ROCPRIM_400000_NS6detail17trampoline_kernelINS0_14default_configENS1_22reduce_config_selectorIfEEZNS1_11reduce_implILb1ES3_PfS7_fN6thrust23THRUST_200600_302600_NS4plusIfEEEE10hipError_tPvRmT1_T2_T3_mT4_P12ihipStream_tbEUlT_E0_NS1_11comp_targetILNS1_3genE3ELNS1_11target_archE908ELNS1_3gpuE7ELNS1_3repE0EEENS1_30default_config_static_selectorELNS0_4arch9wavefront6targetE0EEEvSF_
    .private_segment_fixed_size: 0
    .sgpr_count:     0
    .sgpr_spill_count: 0
    .symbol:         _ZN7rocprim17ROCPRIM_400000_NS6detail17trampoline_kernelINS0_14default_configENS1_22reduce_config_selectorIfEEZNS1_11reduce_implILb1ES3_PfS7_fN6thrust23THRUST_200600_302600_NS4plusIfEEEE10hipError_tPvRmT1_T2_T3_mT4_P12ihipStream_tbEUlT_E0_NS1_11comp_targetILNS1_3genE3ELNS1_11target_archE908ELNS1_3gpuE7ELNS1_3repE0EEENS1_30default_config_static_selectorELNS0_4arch9wavefront6targetE0EEEvSF_.kd
    .uniform_work_group_size: 1
    .uses_dynamic_stack: false
    .vgpr_count:     0
    .vgpr_spill_count: 0
    .wavefront_size: 32
    .workgroup_processor_mode: 1
  - .args:
      - .offset:         0
        .size:           56
        .value_kind:     by_value
    .group_segment_fixed_size: 0
    .kernarg_segment_align: 8
    .kernarg_segment_size: 56
    .language:       OpenCL C
    .language_version:
      - 2
      - 0
    .max_flat_workgroup_size: 256
    .name:           _ZN7rocprim17ROCPRIM_400000_NS6detail17trampoline_kernelINS0_14default_configENS1_22reduce_config_selectorIfEEZNS1_11reduce_implILb1ES3_PfS7_fN6thrust23THRUST_200600_302600_NS4plusIfEEEE10hipError_tPvRmT1_T2_T3_mT4_P12ihipStream_tbEUlT_E0_NS1_11comp_targetILNS1_3genE2ELNS1_11target_archE906ELNS1_3gpuE6ELNS1_3repE0EEENS1_30default_config_static_selectorELNS0_4arch9wavefront6targetE0EEEvSF_
    .private_segment_fixed_size: 0
    .sgpr_count:     0
    .sgpr_spill_count: 0
    .symbol:         _ZN7rocprim17ROCPRIM_400000_NS6detail17trampoline_kernelINS0_14default_configENS1_22reduce_config_selectorIfEEZNS1_11reduce_implILb1ES3_PfS7_fN6thrust23THRUST_200600_302600_NS4plusIfEEEE10hipError_tPvRmT1_T2_T3_mT4_P12ihipStream_tbEUlT_E0_NS1_11comp_targetILNS1_3genE2ELNS1_11target_archE906ELNS1_3gpuE6ELNS1_3repE0EEENS1_30default_config_static_selectorELNS0_4arch9wavefront6targetE0EEEvSF_.kd
    .uniform_work_group_size: 1
    .uses_dynamic_stack: false
    .vgpr_count:     0
    .vgpr_spill_count: 0
    .wavefront_size: 32
    .workgroup_processor_mode: 1
  - .args:
      - .offset:         0
        .size:           56
        .value_kind:     by_value
    .group_segment_fixed_size: 0
    .kernarg_segment_align: 8
    .kernarg_segment_size: 56
    .language:       OpenCL C
    .language_version:
      - 2
      - 0
    .max_flat_workgroup_size: 256
    .name:           _ZN7rocprim17ROCPRIM_400000_NS6detail17trampoline_kernelINS0_14default_configENS1_22reduce_config_selectorIfEEZNS1_11reduce_implILb1ES3_PfS7_fN6thrust23THRUST_200600_302600_NS4plusIfEEEE10hipError_tPvRmT1_T2_T3_mT4_P12ihipStream_tbEUlT_E0_NS1_11comp_targetILNS1_3genE10ELNS1_11target_archE1201ELNS1_3gpuE5ELNS1_3repE0EEENS1_30default_config_static_selectorELNS0_4arch9wavefront6targetE0EEEvSF_
    .private_segment_fixed_size: 0
    .sgpr_count:     0
    .sgpr_spill_count: 0
    .symbol:         _ZN7rocprim17ROCPRIM_400000_NS6detail17trampoline_kernelINS0_14default_configENS1_22reduce_config_selectorIfEEZNS1_11reduce_implILb1ES3_PfS7_fN6thrust23THRUST_200600_302600_NS4plusIfEEEE10hipError_tPvRmT1_T2_T3_mT4_P12ihipStream_tbEUlT_E0_NS1_11comp_targetILNS1_3genE10ELNS1_11target_archE1201ELNS1_3gpuE5ELNS1_3repE0EEENS1_30default_config_static_selectorELNS0_4arch9wavefront6targetE0EEEvSF_.kd
    .uniform_work_group_size: 1
    .uses_dynamic_stack: false
    .vgpr_count:     0
    .vgpr_spill_count: 0
    .wavefront_size: 32
    .workgroup_processor_mode: 1
  - .args:
      - .offset:         0
        .size:           56
        .value_kind:     by_value
    .group_segment_fixed_size: 0
    .kernarg_segment_align: 8
    .kernarg_segment_size: 56
    .language:       OpenCL C
    .language_version:
      - 2
      - 0
    .max_flat_workgroup_size: 256
    .name:           _ZN7rocprim17ROCPRIM_400000_NS6detail17trampoline_kernelINS0_14default_configENS1_22reduce_config_selectorIfEEZNS1_11reduce_implILb1ES3_PfS7_fN6thrust23THRUST_200600_302600_NS4plusIfEEEE10hipError_tPvRmT1_T2_T3_mT4_P12ihipStream_tbEUlT_E0_NS1_11comp_targetILNS1_3genE10ELNS1_11target_archE1200ELNS1_3gpuE4ELNS1_3repE0EEENS1_30default_config_static_selectorELNS0_4arch9wavefront6targetE0EEEvSF_
    .private_segment_fixed_size: 0
    .sgpr_count:     0
    .sgpr_spill_count: 0
    .symbol:         _ZN7rocprim17ROCPRIM_400000_NS6detail17trampoline_kernelINS0_14default_configENS1_22reduce_config_selectorIfEEZNS1_11reduce_implILb1ES3_PfS7_fN6thrust23THRUST_200600_302600_NS4plusIfEEEE10hipError_tPvRmT1_T2_T3_mT4_P12ihipStream_tbEUlT_E0_NS1_11comp_targetILNS1_3genE10ELNS1_11target_archE1200ELNS1_3gpuE4ELNS1_3repE0EEENS1_30default_config_static_selectorELNS0_4arch9wavefront6targetE0EEEvSF_.kd
    .uniform_work_group_size: 1
    .uses_dynamic_stack: false
    .vgpr_count:     0
    .vgpr_spill_count: 0
    .wavefront_size: 32
    .workgroup_processor_mode: 1
  - .args:
      - .offset:         0
        .size:           56
        .value_kind:     by_value
    .group_segment_fixed_size: 0
    .kernarg_segment_align: 8
    .kernarg_segment_size: 56
    .language:       OpenCL C
    .language_version:
      - 2
      - 0
    .max_flat_workgroup_size: 256
    .name:           _ZN7rocprim17ROCPRIM_400000_NS6detail17trampoline_kernelINS0_14default_configENS1_22reduce_config_selectorIfEEZNS1_11reduce_implILb1ES3_PfS7_fN6thrust23THRUST_200600_302600_NS4plusIfEEEE10hipError_tPvRmT1_T2_T3_mT4_P12ihipStream_tbEUlT_E0_NS1_11comp_targetILNS1_3genE9ELNS1_11target_archE1100ELNS1_3gpuE3ELNS1_3repE0EEENS1_30default_config_static_selectorELNS0_4arch9wavefront6targetE0EEEvSF_
    .private_segment_fixed_size: 0
    .sgpr_count:     0
    .sgpr_spill_count: 0
    .symbol:         _ZN7rocprim17ROCPRIM_400000_NS6detail17trampoline_kernelINS0_14default_configENS1_22reduce_config_selectorIfEEZNS1_11reduce_implILb1ES3_PfS7_fN6thrust23THRUST_200600_302600_NS4plusIfEEEE10hipError_tPvRmT1_T2_T3_mT4_P12ihipStream_tbEUlT_E0_NS1_11comp_targetILNS1_3genE9ELNS1_11target_archE1100ELNS1_3gpuE3ELNS1_3repE0EEENS1_30default_config_static_selectorELNS0_4arch9wavefront6targetE0EEEvSF_.kd
    .uniform_work_group_size: 1
    .uses_dynamic_stack: false
    .vgpr_count:     0
    .vgpr_spill_count: 0
    .wavefront_size: 32
    .workgroup_processor_mode: 1
  - .args:
      - .offset:         0
        .size:           56
        .value_kind:     by_value
    .group_segment_fixed_size: 64
    .kernarg_segment_align: 8
    .kernarg_segment_size: 56
    .language:       OpenCL C
    .language_version:
      - 2
      - 0
    .max_flat_workgroup_size: 256
    .name:           _ZN7rocprim17ROCPRIM_400000_NS6detail17trampoline_kernelINS0_14default_configENS1_22reduce_config_selectorIfEEZNS1_11reduce_implILb1ES3_PfS7_fN6thrust23THRUST_200600_302600_NS4plusIfEEEE10hipError_tPvRmT1_T2_T3_mT4_P12ihipStream_tbEUlT_E0_NS1_11comp_targetILNS1_3genE8ELNS1_11target_archE1030ELNS1_3gpuE2ELNS1_3repE0EEENS1_30default_config_static_selectorELNS0_4arch9wavefront6targetE0EEEvSF_
    .private_segment_fixed_size: 0
    .sgpr_count:     22
    .sgpr_spill_count: 0
    .symbol:         _ZN7rocprim17ROCPRIM_400000_NS6detail17trampoline_kernelINS0_14default_configENS1_22reduce_config_selectorIfEEZNS1_11reduce_implILb1ES3_PfS7_fN6thrust23THRUST_200600_302600_NS4plusIfEEEE10hipError_tPvRmT1_T2_T3_mT4_P12ihipStream_tbEUlT_E0_NS1_11comp_targetILNS1_3genE8ELNS1_11target_archE1030ELNS1_3gpuE2ELNS1_3repE0EEENS1_30default_config_static_selectorELNS0_4arch9wavefront6targetE0EEEvSF_.kd
    .uniform_work_group_size: 1
    .uses_dynamic_stack: false
    .vgpr_count:     9
    .vgpr_spill_count: 0
    .wavefront_size: 32
    .workgroup_processor_mode: 1
  - .args:
      - .offset:         0
        .size:           40
        .value_kind:     by_value
    .group_segment_fixed_size: 0
    .kernarg_segment_align: 8
    .kernarg_segment_size: 40
    .language:       OpenCL C
    .language_version:
      - 2
      - 0
    .max_flat_workgroup_size: 256
    .name:           _ZN7rocprim17ROCPRIM_400000_NS6detail17trampoline_kernelINS0_14default_configENS1_22reduce_config_selectorIfEEZNS1_11reduce_implILb1ES3_PfS7_fN6thrust23THRUST_200600_302600_NS4plusIfEEEE10hipError_tPvRmT1_T2_T3_mT4_P12ihipStream_tbEUlT_E1_NS1_11comp_targetILNS1_3genE0ELNS1_11target_archE4294967295ELNS1_3gpuE0ELNS1_3repE0EEENS1_30default_config_static_selectorELNS0_4arch9wavefront6targetE0EEEvSF_
    .private_segment_fixed_size: 0
    .sgpr_count:     0
    .sgpr_spill_count: 0
    .symbol:         _ZN7rocprim17ROCPRIM_400000_NS6detail17trampoline_kernelINS0_14default_configENS1_22reduce_config_selectorIfEEZNS1_11reduce_implILb1ES3_PfS7_fN6thrust23THRUST_200600_302600_NS4plusIfEEEE10hipError_tPvRmT1_T2_T3_mT4_P12ihipStream_tbEUlT_E1_NS1_11comp_targetILNS1_3genE0ELNS1_11target_archE4294967295ELNS1_3gpuE0ELNS1_3repE0EEENS1_30default_config_static_selectorELNS0_4arch9wavefront6targetE0EEEvSF_.kd
    .uniform_work_group_size: 1
    .uses_dynamic_stack: false
    .vgpr_count:     0
    .vgpr_spill_count: 0
    .wavefront_size: 32
    .workgroup_processor_mode: 1
  - .args:
      - .offset:         0
        .size:           40
        .value_kind:     by_value
    .group_segment_fixed_size: 0
    .kernarg_segment_align: 8
    .kernarg_segment_size: 40
    .language:       OpenCL C
    .language_version:
      - 2
      - 0
    .max_flat_workgroup_size: 128
    .name:           _ZN7rocprim17ROCPRIM_400000_NS6detail17trampoline_kernelINS0_14default_configENS1_22reduce_config_selectorIfEEZNS1_11reduce_implILb1ES3_PfS7_fN6thrust23THRUST_200600_302600_NS4plusIfEEEE10hipError_tPvRmT1_T2_T3_mT4_P12ihipStream_tbEUlT_E1_NS1_11comp_targetILNS1_3genE5ELNS1_11target_archE942ELNS1_3gpuE9ELNS1_3repE0EEENS1_30default_config_static_selectorELNS0_4arch9wavefront6targetE0EEEvSF_
    .private_segment_fixed_size: 0
    .sgpr_count:     0
    .sgpr_spill_count: 0
    .symbol:         _ZN7rocprim17ROCPRIM_400000_NS6detail17trampoline_kernelINS0_14default_configENS1_22reduce_config_selectorIfEEZNS1_11reduce_implILb1ES3_PfS7_fN6thrust23THRUST_200600_302600_NS4plusIfEEEE10hipError_tPvRmT1_T2_T3_mT4_P12ihipStream_tbEUlT_E1_NS1_11comp_targetILNS1_3genE5ELNS1_11target_archE942ELNS1_3gpuE9ELNS1_3repE0EEENS1_30default_config_static_selectorELNS0_4arch9wavefront6targetE0EEEvSF_.kd
    .uniform_work_group_size: 1
    .uses_dynamic_stack: false
    .vgpr_count:     0
    .vgpr_spill_count: 0
    .wavefront_size: 32
    .workgroup_processor_mode: 1
  - .args:
      - .offset:         0
        .size:           40
        .value_kind:     by_value
    .group_segment_fixed_size: 0
    .kernarg_segment_align: 8
    .kernarg_segment_size: 40
    .language:       OpenCL C
    .language_version:
      - 2
      - 0
    .max_flat_workgroup_size: 128
    .name:           _ZN7rocprim17ROCPRIM_400000_NS6detail17trampoline_kernelINS0_14default_configENS1_22reduce_config_selectorIfEEZNS1_11reduce_implILb1ES3_PfS7_fN6thrust23THRUST_200600_302600_NS4plusIfEEEE10hipError_tPvRmT1_T2_T3_mT4_P12ihipStream_tbEUlT_E1_NS1_11comp_targetILNS1_3genE4ELNS1_11target_archE910ELNS1_3gpuE8ELNS1_3repE0EEENS1_30default_config_static_selectorELNS0_4arch9wavefront6targetE0EEEvSF_
    .private_segment_fixed_size: 0
    .sgpr_count:     0
    .sgpr_spill_count: 0
    .symbol:         _ZN7rocprim17ROCPRIM_400000_NS6detail17trampoline_kernelINS0_14default_configENS1_22reduce_config_selectorIfEEZNS1_11reduce_implILb1ES3_PfS7_fN6thrust23THRUST_200600_302600_NS4plusIfEEEE10hipError_tPvRmT1_T2_T3_mT4_P12ihipStream_tbEUlT_E1_NS1_11comp_targetILNS1_3genE4ELNS1_11target_archE910ELNS1_3gpuE8ELNS1_3repE0EEENS1_30default_config_static_selectorELNS0_4arch9wavefront6targetE0EEEvSF_.kd
    .uniform_work_group_size: 1
    .uses_dynamic_stack: false
    .vgpr_count:     0
    .vgpr_spill_count: 0
    .wavefront_size: 32
    .workgroup_processor_mode: 1
  - .args:
      - .offset:         0
        .size:           40
        .value_kind:     by_value
    .group_segment_fixed_size: 0
    .kernarg_segment_align: 8
    .kernarg_segment_size: 40
    .language:       OpenCL C
    .language_version:
      - 2
      - 0
    .max_flat_workgroup_size: 256
    .name:           _ZN7rocprim17ROCPRIM_400000_NS6detail17trampoline_kernelINS0_14default_configENS1_22reduce_config_selectorIfEEZNS1_11reduce_implILb1ES3_PfS7_fN6thrust23THRUST_200600_302600_NS4plusIfEEEE10hipError_tPvRmT1_T2_T3_mT4_P12ihipStream_tbEUlT_E1_NS1_11comp_targetILNS1_3genE3ELNS1_11target_archE908ELNS1_3gpuE7ELNS1_3repE0EEENS1_30default_config_static_selectorELNS0_4arch9wavefront6targetE0EEEvSF_
    .private_segment_fixed_size: 0
    .sgpr_count:     0
    .sgpr_spill_count: 0
    .symbol:         _ZN7rocprim17ROCPRIM_400000_NS6detail17trampoline_kernelINS0_14default_configENS1_22reduce_config_selectorIfEEZNS1_11reduce_implILb1ES3_PfS7_fN6thrust23THRUST_200600_302600_NS4plusIfEEEE10hipError_tPvRmT1_T2_T3_mT4_P12ihipStream_tbEUlT_E1_NS1_11comp_targetILNS1_3genE3ELNS1_11target_archE908ELNS1_3gpuE7ELNS1_3repE0EEENS1_30default_config_static_selectorELNS0_4arch9wavefront6targetE0EEEvSF_.kd
    .uniform_work_group_size: 1
    .uses_dynamic_stack: false
    .vgpr_count:     0
    .vgpr_spill_count: 0
    .wavefront_size: 32
    .workgroup_processor_mode: 1
  - .args:
      - .offset:         0
        .size:           40
        .value_kind:     by_value
    .group_segment_fixed_size: 0
    .kernarg_segment_align: 8
    .kernarg_segment_size: 40
    .language:       OpenCL C
    .language_version:
      - 2
      - 0
    .max_flat_workgroup_size: 256
    .name:           _ZN7rocprim17ROCPRIM_400000_NS6detail17trampoline_kernelINS0_14default_configENS1_22reduce_config_selectorIfEEZNS1_11reduce_implILb1ES3_PfS7_fN6thrust23THRUST_200600_302600_NS4plusIfEEEE10hipError_tPvRmT1_T2_T3_mT4_P12ihipStream_tbEUlT_E1_NS1_11comp_targetILNS1_3genE2ELNS1_11target_archE906ELNS1_3gpuE6ELNS1_3repE0EEENS1_30default_config_static_selectorELNS0_4arch9wavefront6targetE0EEEvSF_
    .private_segment_fixed_size: 0
    .sgpr_count:     0
    .sgpr_spill_count: 0
    .symbol:         _ZN7rocprim17ROCPRIM_400000_NS6detail17trampoline_kernelINS0_14default_configENS1_22reduce_config_selectorIfEEZNS1_11reduce_implILb1ES3_PfS7_fN6thrust23THRUST_200600_302600_NS4plusIfEEEE10hipError_tPvRmT1_T2_T3_mT4_P12ihipStream_tbEUlT_E1_NS1_11comp_targetILNS1_3genE2ELNS1_11target_archE906ELNS1_3gpuE6ELNS1_3repE0EEENS1_30default_config_static_selectorELNS0_4arch9wavefront6targetE0EEEvSF_.kd
    .uniform_work_group_size: 1
    .uses_dynamic_stack: false
    .vgpr_count:     0
    .vgpr_spill_count: 0
    .wavefront_size: 32
    .workgroup_processor_mode: 1
  - .args:
      - .offset:         0
        .size:           40
        .value_kind:     by_value
    .group_segment_fixed_size: 0
    .kernarg_segment_align: 8
    .kernarg_segment_size: 40
    .language:       OpenCL C
    .language_version:
      - 2
      - 0
    .max_flat_workgroup_size: 256
    .name:           _ZN7rocprim17ROCPRIM_400000_NS6detail17trampoline_kernelINS0_14default_configENS1_22reduce_config_selectorIfEEZNS1_11reduce_implILb1ES3_PfS7_fN6thrust23THRUST_200600_302600_NS4plusIfEEEE10hipError_tPvRmT1_T2_T3_mT4_P12ihipStream_tbEUlT_E1_NS1_11comp_targetILNS1_3genE10ELNS1_11target_archE1201ELNS1_3gpuE5ELNS1_3repE0EEENS1_30default_config_static_selectorELNS0_4arch9wavefront6targetE0EEEvSF_
    .private_segment_fixed_size: 0
    .sgpr_count:     0
    .sgpr_spill_count: 0
    .symbol:         _ZN7rocprim17ROCPRIM_400000_NS6detail17trampoline_kernelINS0_14default_configENS1_22reduce_config_selectorIfEEZNS1_11reduce_implILb1ES3_PfS7_fN6thrust23THRUST_200600_302600_NS4plusIfEEEE10hipError_tPvRmT1_T2_T3_mT4_P12ihipStream_tbEUlT_E1_NS1_11comp_targetILNS1_3genE10ELNS1_11target_archE1201ELNS1_3gpuE5ELNS1_3repE0EEENS1_30default_config_static_selectorELNS0_4arch9wavefront6targetE0EEEvSF_.kd
    .uniform_work_group_size: 1
    .uses_dynamic_stack: false
    .vgpr_count:     0
    .vgpr_spill_count: 0
    .wavefront_size: 32
    .workgroup_processor_mode: 1
  - .args:
      - .offset:         0
        .size:           40
        .value_kind:     by_value
    .group_segment_fixed_size: 0
    .kernarg_segment_align: 8
    .kernarg_segment_size: 40
    .language:       OpenCL C
    .language_version:
      - 2
      - 0
    .max_flat_workgroup_size: 256
    .name:           _ZN7rocprim17ROCPRIM_400000_NS6detail17trampoline_kernelINS0_14default_configENS1_22reduce_config_selectorIfEEZNS1_11reduce_implILb1ES3_PfS7_fN6thrust23THRUST_200600_302600_NS4plusIfEEEE10hipError_tPvRmT1_T2_T3_mT4_P12ihipStream_tbEUlT_E1_NS1_11comp_targetILNS1_3genE10ELNS1_11target_archE1200ELNS1_3gpuE4ELNS1_3repE0EEENS1_30default_config_static_selectorELNS0_4arch9wavefront6targetE0EEEvSF_
    .private_segment_fixed_size: 0
    .sgpr_count:     0
    .sgpr_spill_count: 0
    .symbol:         _ZN7rocprim17ROCPRIM_400000_NS6detail17trampoline_kernelINS0_14default_configENS1_22reduce_config_selectorIfEEZNS1_11reduce_implILb1ES3_PfS7_fN6thrust23THRUST_200600_302600_NS4plusIfEEEE10hipError_tPvRmT1_T2_T3_mT4_P12ihipStream_tbEUlT_E1_NS1_11comp_targetILNS1_3genE10ELNS1_11target_archE1200ELNS1_3gpuE4ELNS1_3repE0EEENS1_30default_config_static_selectorELNS0_4arch9wavefront6targetE0EEEvSF_.kd
    .uniform_work_group_size: 1
    .uses_dynamic_stack: false
    .vgpr_count:     0
    .vgpr_spill_count: 0
    .wavefront_size: 32
    .workgroup_processor_mode: 1
  - .args:
      - .offset:         0
        .size:           40
        .value_kind:     by_value
    .group_segment_fixed_size: 0
    .kernarg_segment_align: 8
    .kernarg_segment_size: 40
    .language:       OpenCL C
    .language_version:
      - 2
      - 0
    .max_flat_workgroup_size: 256
    .name:           _ZN7rocprim17ROCPRIM_400000_NS6detail17trampoline_kernelINS0_14default_configENS1_22reduce_config_selectorIfEEZNS1_11reduce_implILb1ES3_PfS7_fN6thrust23THRUST_200600_302600_NS4plusIfEEEE10hipError_tPvRmT1_T2_T3_mT4_P12ihipStream_tbEUlT_E1_NS1_11comp_targetILNS1_3genE9ELNS1_11target_archE1100ELNS1_3gpuE3ELNS1_3repE0EEENS1_30default_config_static_selectorELNS0_4arch9wavefront6targetE0EEEvSF_
    .private_segment_fixed_size: 0
    .sgpr_count:     0
    .sgpr_spill_count: 0
    .symbol:         _ZN7rocprim17ROCPRIM_400000_NS6detail17trampoline_kernelINS0_14default_configENS1_22reduce_config_selectorIfEEZNS1_11reduce_implILb1ES3_PfS7_fN6thrust23THRUST_200600_302600_NS4plusIfEEEE10hipError_tPvRmT1_T2_T3_mT4_P12ihipStream_tbEUlT_E1_NS1_11comp_targetILNS1_3genE9ELNS1_11target_archE1100ELNS1_3gpuE3ELNS1_3repE0EEENS1_30default_config_static_selectorELNS0_4arch9wavefront6targetE0EEEvSF_.kd
    .uniform_work_group_size: 1
    .uses_dynamic_stack: false
    .vgpr_count:     0
    .vgpr_spill_count: 0
    .wavefront_size: 32
    .workgroup_processor_mode: 1
  - .args:
      - .offset:         0
        .size:           40
        .value_kind:     by_value
    .group_segment_fixed_size: 224
    .kernarg_segment_align: 8
    .kernarg_segment_size: 40
    .language:       OpenCL C
    .language_version:
      - 2
      - 0
    .max_flat_workgroup_size: 256
    .name:           _ZN7rocprim17ROCPRIM_400000_NS6detail17trampoline_kernelINS0_14default_configENS1_22reduce_config_selectorIfEEZNS1_11reduce_implILb1ES3_PfS7_fN6thrust23THRUST_200600_302600_NS4plusIfEEEE10hipError_tPvRmT1_T2_T3_mT4_P12ihipStream_tbEUlT_E1_NS1_11comp_targetILNS1_3genE8ELNS1_11target_archE1030ELNS1_3gpuE2ELNS1_3repE0EEENS1_30default_config_static_selectorELNS0_4arch9wavefront6targetE0EEEvSF_
    .private_segment_fixed_size: 0
    .sgpr_count:     47
    .sgpr_spill_count: 0
    .symbol:         _ZN7rocprim17ROCPRIM_400000_NS6detail17trampoline_kernelINS0_14default_configENS1_22reduce_config_selectorIfEEZNS1_11reduce_implILb1ES3_PfS7_fN6thrust23THRUST_200600_302600_NS4plusIfEEEE10hipError_tPvRmT1_T2_T3_mT4_P12ihipStream_tbEUlT_E1_NS1_11comp_targetILNS1_3genE8ELNS1_11target_archE1030ELNS1_3gpuE2ELNS1_3repE0EEENS1_30default_config_static_selectorELNS0_4arch9wavefront6targetE0EEEvSF_.kd
    .uniform_work_group_size: 1
    .uses_dynamic_stack: false
    .vgpr_count:     36
    .vgpr_spill_count: 0
    .wavefront_size: 32
    .workgroup_processor_mode: 1
  - .args:
      - .offset:         0
        .size:           56
        .value_kind:     by_value
    .group_segment_fixed_size: 0
    .kernarg_segment_align: 8
    .kernarg_segment_size: 56
    .language:       OpenCL C
    .language_version:
      - 2
      - 0
    .max_flat_workgroup_size: 256
    .name:           _ZN7rocprim17ROCPRIM_400000_NS6detail17trampoline_kernelINS0_14default_configENS1_22reduce_config_selectorIfEEZNS1_11reduce_implILb1ES3_N6thrust23THRUST_200600_302600_NS11hip_rocprim26transform_input_iterator_tIfNS8_17counting_iteratorIiNS8_11use_defaultESC_SC_EE11estimate_piEEPffNS8_4plusIfEEEE10hipError_tPvRmT1_T2_T3_mT4_P12ihipStream_tbEUlT_E0_NS1_11comp_targetILNS1_3genE0ELNS1_11target_archE4294967295ELNS1_3gpuE0ELNS1_3repE0EEENS1_30default_config_static_selectorELNS0_4arch9wavefront6targetE0EEEvSM_
    .private_segment_fixed_size: 0
    .sgpr_count:     0
    .sgpr_spill_count: 0
    .symbol:         _ZN7rocprim17ROCPRIM_400000_NS6detail17trampoline_kernelINS0_14default_configENS1_22reduce_config_selectorIfEEZNS1_11reduce_implILb1ES3_N6thrust23THRUST_200600_302600_NS11hip_rocprim26transform_input_iterator_tIfNS8_17counting_iteratorIiNS8_11use_defaultESC_SC_EE11estimate_piEEPffNS8_4plusIfEEEE10hipError_tPvRmT1_T2_T3_mT4_P12ihipStream_tbEUlT_E0_NS1_11comp_targetILNS1_3genE0ELNS1_11target_archE4294967295ELNS1_3gpuE0ELNS1_3repE0EEENS1_30default_config_static_selectorELNS0_4arch9wavefront6targetE0EEEvSM_.kd
    .uniform_work_group_size: 1
    .uses_dynamic_stack: false
    .vgpr_count:     0
    .vgpr_spill_count: 0
    .wavefront_size: 32
    .workgroup_processor_mode: 1
  - .args:
      - .offset:         0
        .size:           56
        .value_kind:     by_value
    .group_segment_fixed_size: 0
    .kernarg_segment_align: 8
    .kernarg_segment_size: 56
    .language:       OpenCL C
    .language_version:
      - 2
      - 0
    .max_flat_workgroup_size: 128
    .name:           _ZN7rocprim17ROCPRIM_400000_NS6detail17trampoline_kernelINS0_14default_configENS1_22reduce_config_selectorIfEEZNS1_11reduce_implILb1ES3_N6thrust23THRUST_200600_302600_NS11hip_rocprim26transform_input_iterator_tIfNS8_17counting_iteratorIiNS8_11use_defaultESC_SC_EE11estimate_piEEPffNS8_4plusIfEEEE10hipError_tPvRmT1_T2_T3_mT4_P12ihipStream_tbEUlT_E0_NS1_11comp_targetILNS1_3genE5ELNS1_11target_archE942ELNS1_3gpuE9ELNS1_3repE0EEENS1_30default_config_static_selectorELNS0_4arch9wavefront6targetE0EEEvSM_
    .private_segment_fixed_size: 0
    .sgpr_count:     0
    .sgpr_spill_count: 0
    .symbol:         _ZN7rocprim17ROCPRIM_400000_NS6detail17trampoline_kernelINS0_14default_configENS1_22reduce_config_selectorIfEEZNS1_11reduce_implILb1ES3_N6thrust23THRUST_200600_302600_NS11hip_rocprim26transform_input_iterator_tIfNS8_17counting_iteratorIiNS8_11use_defaultESC_SC_EE11estimate_piEEPffNS8_4plusIfEEEE10hipError_tPvRmT1_T2_T3_mT4_P12ihipStream_tbEUlT_E0_NS1_11comp_targetILNS1_3genE5ELNS1_11target_archE942ELNS1_3gpuE9ELNS1_3repE0EEENS1_30default_config_static_selectorELNS0_4arch9wavefront6targetE0EEEvSM_.kd
    .uniform_work_group_size: 1
    .uses_dynamic_stack: false
    .vgpr_count:     0
    .vgpr_spill_count: 0
    .wavefront_size: 32
    .workgroup_processor_mode: 1
  - .args:
      - .offset:         0
        .size:           56
        .value_kind:     by_value
    .group_segment_fixed_size: 0
    .kernarg_segment_align: 8
    .kernarg_segment_size: 56
    .language:       OpenCL C
    .language_version:
      - 2
      - 0
    .max_flat_workgroup_size: 128
    .name:           _ZN7rocprim17ROCPRIM_400000_NS6detail17trampoline_kernelINS0_14default_configENS1_22reduce_config_selectorIfEEZNS1_11reduce_implILb1ES3_N6thrust23THRUST_200600_302600_NS11hip_rocprim26transform_input_iterator_tIfNS8_17counting_iteratorIiNS8_11use_defaultESC_SC_EE11estimate_piEEPffNS8_4plusIfEEEE10hipError_tPvRmT1_T2_T3_mT4_P12ihipStream_tbEUlT_E0_NS1_11comp_targetILNS1_3genE4ELNS1_11target_archE910ELNS1_3gpuE8ELNS1_3repE0EEENS1_30default_config_static_selectorELNS0_4arch9wavefront6targetE0EEEvSM_
    .private_segment_fixed_size: 0
    .sgpr_count:     0
    .sgpr_spill_count: 0
    .symbol:         _ZN7rocprim17ROCPRIM_400000_NS6detail17trampoline_kernelINS0_14default_configENS1_22reduce_config_selectorIfEEZNS1_11reduce_implILb1ES3_N6thrust23THRUST_200600_302600_NS11hip_rocprim26transform_input_iterator_tIfNS8_17counting_iteratorIiNS8_11use_defaultESC_SC_EE11estimate_piEEPffNS8_4plusIfEEEE10hipError_tPvRmT1_T2_T3_mT4_P12ihipStream_tbEUlT_E0_NS1_11comp_targetILNS1_3genE4ELNS1_11target_archE910ELNS1_3gpuE8ELNS1_3repE0EEENS1_30default_config_static_selectorELNS0_4arch9wavefront6targetE0EEEvSM_.kd
    .uniform_work_group_size: 1
    .uses_dynamic_stack: false
    .vgpr_count:     0
    .vgpr_spill_count: 0
    .wavefront_size: 32
    .workgroup_processor_mode: 1
  - .args:
      - .offset:         0
        .size:           56
        .value_kind:     by_value
    .group_segment_fixed_size: 0
    .kernarg_segment_align: 8
    .kernarg_segment_size: 56
    .language:       OpenCL C
    .language_version:
      - 2
      - 0
    .max_flat_workgroup_size: 256
    .name:           _ZN7rocprim17ROCPRIM_400000_NS6detail17trampoline_kernelINS0_14default_configENS1_22reduce_config_selectorIfEEZNS1_11reduce_implILb1ES3_N6thrust23THRUST_200600_302600_NS11hip_rocprim26transform_input_iterator_tIfNS8_17counting_iteratorIiNS8_11use_defaultESC_SC_EE11estimate_piEEPffNS8_4plusIfEEEE10hipError_tPvRmT1_T2_T3_mT4_P12ihipStream_tbEUlT_E0_NS1_11comp_targetILNS1_3genE3ELNS1_11target_archE908ELNS1_3gpuE7ELNS1_3repE0EEENS1_30default_config_static_selectorELNS0_4arch9wavefront6targetE0EEEvSM_
    .private_segment_fixed_size: 0
    .sgpr_count:     0
    .sgpr_spill_count: 0
    .symbol:         _ZN7rocprim17ROCPRIM_400000_NS6detail17trampoline_kernelINS0_14default_configENS1_22reduce_config_selectorIfEEZNS1_11reduce_implILb1ES3_N6thrust23THRUST_200600_302600_NS11hip_rocprim26transform_input_iterator_tIfNS8_17counting_iteratorIiNS8_11use_defaultESC_SC_EE11estimate_piEEPffNS8_4plusIfEEEE10hipError_tPvRmT1_T2_T3_mT4_P12ihipStream_tbEUlT_E0_NS1_11comp_targetILNS1_3genE3ELNS1_11target_archE908ELNS1_3gpuE7ELNS1_3repE0EEENS1_30default_config_static_selectorELNS0_4arch9wavefront6targetE0EEEvSM_.kd
    .uniform_work_group_size: 1
    .uses_dynamic_stack: false
    .vgpr_count:     0
    .vgpr_spill_count: 0
    .wavefront_size: 32
    .workgroup_processor_mode: 1
  - .args:
      - .offset:         0
        .size:           56
        .value_kind:     by_value
    .group_segment_fixed_size: 0
    .kernarg_segment_align: 8
    .kernarg_segment_size: 56
    .language:       OpenCL C
    .language_version:
      - 2
      - 0
    .max_flat_workgroup_size: 256
    .name:           _ZN7rocprim17ROCPRIM_400000_NS6detail17trampoline_kernelINS0_14default_configENS1_22reduce_config_selectorIfEEZNS1_11reduce_implILb1ES3_N6thrust23THRUST_200600_302600_NS11hip_rocprim26transform_input_iterator_tIfNS8_17counting_iteratorIiNS8_11use_defaultESC_SC_EE11estimate_piEEPffNS8_4plusIfEEEE10hipError_tPvRmT1_T2_T3_mT4_P12ihipStream_tbEUlT_E0_NS1_11comp_targetILNS1_3genE2ELNS1_11target_archE906ELNS1_3gpuE6ELNS1_3repE0EEENS1_30default_config_static_selectorELNS0_4arch9wavefront6targetE0EEEvSM_
    .private_segment_fixed_size: 0
    .sgpr_count:     0
    .sgpr_spill_count: 0
    .symbol:         _ZN7rocprim17ROCPRIM_400000_NS6detail17trampoline_kernelINS0_14default_configENS1_22reduce_config_selectorIfEEZNS1_11reduce_implILb1ES3_N6thrust23THRUST_200600_302600_NS11hip_rocprim26transform_input_iterator_tIfNS8_17counting_iteratorIiNS8_11use_defaultESC_SC_EE11estimate_piEEPffNS8_4plusIfEEEE10hipError_tPvRmT1_T2_T3_mT4_P12ihipStream_tbEUlT_E0_NS1_11comp_targetILNS1_3genE2ELNS1_11target_archE906ELNS1_3gpuE6ELNS1_3repE0EEENS1_30default_config_static_selectorELNS0_4arch9wavefront6targetE0EEEvSM_.kd
    .uniform_work_group_size: 1
    .uses_dynamic_stack: false
    .vgpr_count:     0
    .vgpr_spill_count: 0
    .wavefront_size: 32
    .workgroup_processor_mode: 1
  - .args:
      - .offset:         0
        .size:           56
        .value_kind:     by_value
    .group_segment_fixed_size: 0
    .kernarg_segment_align: 8
    .kernarg_segment_size: 56
    .language:       OpenCL C
    .language_version:
      - 2
      - 0
    .max_flat_workgroup_size: 256
    .name:           _ZN7rocprim17ROCPRIM_400000_NS6detail17trampoline_kernelINS0_14default_configENS1_22reduce_config_selectorIfEEZNS1_11reduce_implILb1ES3_N6thrust23THRUST_200600_302600_NS11hip_rocprim26transform_input_iterator_tIfNS8_17counting_iteratorIiNS8_11use_defaultESC_SC_EE11estimate_piEEPffNS8_4plusIfEEEE10hipError_tPvRmT1_T2_T3_mT4_P12ihipStream_tbEUlT_E0_NS1_11comp_targetILNS1_3genE10ELNS1_11target_archE1201ELNS1_3gpuE5ELNS1_3repE0EEENS1_30default_config_static_selectorELNS0_4arch9wavefront6targetE0EEEvSM_
    .private_segment_fixed_size: 0
    .sgpr_count:     0
    .sgpr_spill_count: 0
    .symbol:         _ZN7rocprim17ROCPRIM_400000_NS6detail17trampoline_kernelINS0_14default_configENS1_22reduce_config_selectorIfEEZNS1_11reduce_implILb1ES3_N6thrust23THRUST_200600_302600_NS11hip_rocprim26transform_input_iterator_tIfNS8_17counting_iteratorIiNS8_11use_defaultESC_SC_EE11estimate_piEEPffNS8_4plusIfEEEE10hipError_tPvRmT1_T2_T3_mT4_P12ihipStream_tbEUlT_E0_NS1_11comp_targetILNS1_3genE10ELNS1_11target_archE1201ELNS1_3gpuE5ELNS1_3repE0EEENS1_30default_config_static_selectorELNS0_4arch9wavefront6targetE0EEEvSM_.kd
    .uniform_work_group_size: 1
    .uses_dynamic_stack: false
    .vgpr_count:     0
    .vgpr_spill_count: 0
    .wavefront_size: 32
    .workgroup_processor_mode: 1
  - .args:
      - .offset:         0
        .size:           56
        .value_kind:     by_value
    .group_segment_fixed_size: 0
    .kernarg_segment_align: 8
    .kernarg_segment_size: 56
    .language:       OpenCL C
    .language_version:
      - 2
      - 0
    .max_flat_workgroup_size: 256
    .name:           _ZN7rocprim17ROCPRIM_400000_NS6detail17trampoline_kernelINS0_14default_configENS1_22reduce_config_selectorIfEEZNS1_11reduce_implILb1ES3_N6thrust23THRUST_200600_302600_NS11hip_rocprim26transform_input_iterator_tIfNS8_17counting_iteratorIiNS8_11use_defaultESC_SC_EE11estimate_piEEPffNS8_4plusIfEEEE10hipError_tPvRmT1_T2_T3_mT4_P12ihipStream_tbEUlT_E0_NS1_11comp_targetILNS1_3genE10ELNS1_11target_archE1200ELNS1_3gpuE4ELNS1_3repE0EEENS1_30default_config_static_selectorELNS0_4arch9wavefront6targetE0EEEvSM_
    .private_segment_fixed_size: 0
    .sgpr_count:     0
    .sgpr_spill_count: 0
    .symbol:         _ZN7rocprim17ROCPRIM_400000_NS6detail17trampoline_kernelINS0_14default_configENS1_22reduce_config_selectorIfEEZNS1_11reduce_implILb1ES3_N6thrust23THRUST_200600_302600_NS11hip_rocprim26transform_input_iterator_tIfNS8_17counting_iteratorIiNS8_11use_defaultESC_SC_EE11estimate_piEEPffNS8_4plusIfEEEE10hipError_tPvRmT1_T2_T3_mT4_P12ihipStream_tbEUlT_E0_NS1_11comp_targetILNS1_3genE10ELNS1_11target_archE1200ELNS1_3gpuE4ELNS1_3repE0EEENS1_30default_config_static_selectorELNS0_4arch9wavefront6targetE0EEEvSM_.kd
    .uniform_work_group_size: 1
    .uses_dynamic_stack: false
    .vgpr_count:     0
    .vgpr_spill_count: 0
    .wavefront_size: 32
    .workgroup_processor_mode: 1
  - .args:
      - .offset:         0
        .size:           56
        .value_kind:     by_value
    .group_segment_fixed_size: 0
    .kernarg_segment_align: 8
    .kernarg_segment_size: 56
    .language:       OpenCL C
    .language_version:
      - 2
      - 0
    .max_flat_workgroup_size: 256
    .name:           _ZN7rocprim17ROCPRIM_400000_NS6detail17trampoline_kernelINS0_14default_configENS1_22reduce_config_selectorIfEEZNS1_11reduce_implILb1ES3_N6thrust23THRUST_200600_302600_NS11hip_rocprim26transform_input_iterator_tIfNS8_17counting_iteratorIiNS8_11use_defaultESC_SC_EE11estimate_piEEPffNS8_4plusIfEEEE10hipError_tPvRmT1_T2_T3_mT4_P12ihipStream_tbEUlT_E0_NS1_11comp_targetILNS1_3genE9ELNS1_11target_archE1100ELNS1_3gpuE3ELNS1_3repE0EEENS1_30default_config_static_selectorELNS0_4arch9wavefront6targetE0EEEvSM_
    .private_segment_fixed_size: 0
    .sgpr_count:     0
    .sgpr_spill_count: 0
    .symbol:         _ZN7rocprim17ROCPRIM_400000_NS6detail17trampoline_kernelINS0_14default_configENS1_22reduce_config_selectorIfEEZNS1_11reduce_implILb1ES3_N6thrust23THRUST_200600_302600_NS11hip_rocprim26transform_input_iterator_tIfNS8_17counting_iteratorIiNS8_11use_defaultESC_SC_EE11estimate_piEEPffNS8_4plusIfEEEE10hipError_tPvRmT1_T2_T3_mT4_P12ihipStream_tbEUlT_E0_NS1_11comp_targetILNS1_3genE9ELNS1_11target_archE1100ELNS1_3gpuE3ELNS1_3repE0EEENS1_30default_config_static_selectorELNS0_4arch9wavefront6targetE0EEEvSM_.kd
    .uniform_work_group_size: 1
    .uses_dynamic_stack: false
    .vgpr_count:     0
    .vgpr_spill_count: 0
    .wavefront_size: 32
    .workgroup_processor_mode: 1
  - .args:
      - .offset:         0
        .size:           56
        .value_kind:     by_value
    .group_segment_fixed_size: 64
    .kernarg_segment_align: 8
    .kernarg_segment_size: 56
    .language:       OpenCL C
    .language_version:
      - 2
      - 0
    .max_flat_workgroup_size: 256
    .name:           _ZN7rocprim17ROCPRIM_400000_NS6detail17trampoline_kernelINS0_14default_configENS1_22reduce_config_selectorIfEEZNS1_11reduce_implILb1ES3_N6thrust23THRUST_200600_302600_NS11hip_rocprim26transform_input_iterator_tIfNS8_17counting_iteratorIiNS8_11use_defaultESC_SC_EE11estimate_piEEPffNS8_4plusIfEEEE10hipError_tPvRmT1_T2_T3_mT4_P12ihipStream_tbEUlT_E0_NS1_11comp_targetILNS1_3genE8ELNS1_11target_archE1030ELNS1_3gpuE2ELNS1_3repE0EEENS1_30default_config_static_selectorELNS0_4arch9wavefront6targetE0EEEvSM_
    .private_segment_fixed_size: 0
    .sgpr_count:     20
    .sgpr_spill_count: 0
    .symbol:         _ZN7rocprim17ROCPRIM_400000_NS6detail17trampoline_kernelINS0_14default_configENS1_22reduce_config_selectorIfEEZNS1_11reduce_implILb1ES3_N6thrust23THRUST_200600_302600_NS11hip_rocprim26transform_input_iterator_tIfNS8_17counting_iteratorIiNS8_11use_defaultESC_SC_EE11estimate_piEEPffNS8_4plusIfEEEE10hipError_tPvRmT1_T2_T3_mT4_P12ihipStream_tbEUlT_E0_NS1_11comp_targetILNS1_3genE8ELNS1_11target_archE1030ELNS1_3gpuE2ELNS1_3repE0EEENS1_30default_config_static_selectorELNS0_4arch9wavefront6targetE0EEEvSM_.kd
    .uniform_work_group_size: 1
    .uses_dynamic_stack: false
    .vgpr_count:     14
    .vgpr_spill_count: 0
    .wavefront_size: 32
    .workgroup_processor_mode: 1
  - .args:
      - .offset:         0
        .size:           40
        .value_kind:     by_value
    .group_segment_fixed_size: 0
    .kernarg_segment_align: 8
    .kernarg_segment_size: 40
    .language:       OpenCL C
    .language_version:
      - 2
      - 0
    .max_flat_workgroup_size: 256
    .name:           _ZN7rocprim17ROCPRIM_400000_NS6detail17trampoline_kernelINS0_14default_configENS1_22reduce_config_selectorIfEEZNS1_11reduce_implILb1ES3_N6thrust23THRUST_200600_302600_NS11hip_rocprim26transform_input_iterator_tIfNS8_17counting_iteratorIiNS8_11use_defaultESC_SC_EE11estimate_piEEPffNS8_4plusIfEEEE10hipError_tPvRmT1_T2_T3_mT4_P12ihipStream_tbEUlT_E1_NS1_11comp_targetILNS1_3genE0ELNS1_11target_archE4294967295ELNS1_3gpuE0ELNS1_3repE0EEENS1_30default_config_static_selectorELNS0_4arch9wavefront6targetE0EEEvSM_
    .private_segment_fixed_size: 0
    .sgpr_count:     0
    .sgpr_spill_count: 0
    .symbol:         _ZN7rocprim17ROCPRIM_400000_NS6detail17trampoline_kernelINS0_14default_configENS1_22reduce_config_selectorIfEEZNS1_11reduce_implILb1ES3_N6thrust23THRUST_200600_302600_NS11hip_rocprim26transform_input_iterator_tIfNS8_17counting_iteratorIiNS8_11use_defaultESC_SC_EE11estimate_piEEPffNS8_4plusIfEEEE10hipError_tPvRmT1_T2_T3_mT4_P12ihipStream_tbEUlT_E1_NS1_11comp_targetILNS1_3genE0ELNS1_11target_archE4294967295ELNS1_3gpuE0ELNS1_3repE0EEENS1_30default_config_static_selectorELNS0_4arch9wavefront6targetE0EEEvSM_.kd
    .uniform_work_group_size: 1
    .uses_dynamic_stack: false
    .vgpr_count:     0
    .vgpr_spill_count: 0
    .wavefront_size: 32
    .workgroup_processor_mode: 1
  - .args:
      - .offset:         0
        .size:           40
        .value_kind:     by_value
    .group_segment_fixed_size: 0
    .kernarg_segment_align: 8
    .kernarg_segment_size: 40
    .language:       OpenCL C
    .language_version:
      - 2
      - 0
    .max_flat_workgroup_size: 128
    .name:           _ZN7rocprim17ROCPRIM_400000_NS6detail17trampoline_kernelINS0_14default_configENS1_22reduce_config_selectorIfEEZNS1_11reduce_implILb1ES3_N6thrust23THRUST_200600_302600_NS11hip_rocprim26transform_input_iterator_tIfNS8_17counting_iteratorIiNS8_11use_defaultESC_SC_EE11estimate_piEEPffNS8_4plusIfEEEE10hipError_tPvRmT1_T2_T3_mT4_P12ihipStream_tbEUlT_E1_NS1_11comp_targetILNS1_3genE5ELNS1_11target_archE942ELNS1_3gpuE9ELNS1_3repE0EEENS1_30default_config_static_selectorELNS0_4arch9wavefront6targetE0EEEvSM_
    .private_segment_fixed_size: 0
    .sgpr_count:     0
    .sgpr_spill_count: 0
    .symbol:         _ZN7rocprim17ROCPRIM_400000_NS6detail17trampoline_kernelINS0_14default_configENS1_22reduce_config_selectorIfEEZNS1_11reduce_implILb1ES3_N6thrust23THRUST_200600_302600_NS11hip_rocprim26transform_input_iterator_tIfNS8_17counting_iteratorIiNS8_11use_defaultESC_SC_EE11estimate_piEEPffNS8_4plusIfEEEE10hipError_tPvRmT1_T2_T3_mT4_P12ihipStream_tbEUlT_E1_NS1_11comp_targetILNS1_3genE5ELNS1_11target_archE942ELNS1_3gpuE9ELNS1_3repE0EEENS1_30default_config_static_selectorELNS0_4arch9wavefront6targetE0EEEvSM_.kd
    .uniform_work_group_size: 1
    .uses_dynamic_stack: false
    .vgpr_count:     0
    .vgpr_spill_count: 0
    .wavefront_size: 32
    .workgroup_processor_mode: 1
  - .args:
      - .offset:         0
        .size:           40
        .value_kind:     by_value
    .group_segment_fixed_size: 0
    .kernarg_segment_align: 8
    .kernarg_segment_size: 40
    .language:       OpenCL C
    .language_version:
      - 2
      - 0
    .max_flat_workgroup_size: 128
    .name:           _ZN7rocprim17ROCPRIM_400000_NS6detail17trampoline_kernelINS0_14default_configENS1_22reduce_config_selectorIfEEZNS1_11reduce_implILb1ES3_N6thrust23THRUST_200600_302600_NS11hip_rocprim26transform_input_iterator_tIfNS8_17counting_iteratorIiNS8_11use_defaultESC_SC_EE11estimate_piEEPffNS8_4plusIfEEEE10hipError_tPvRmT1_T2_T3_mT4_P12ihipStream_tbEUlT_E1_NS1_11comp_targetILNS1_3genE4ELNS1_11target_archE910ELNS1_3gpuE8ELNS1_3repE0EEENS1_30default_config_static_selectorELNS0_4arch9wavefront6targetE0EEEvSM_
    .private_segment_fixed_size: 0
    .sgpr_count:     0
    .sgpr_spill_count: 0
    .symbol:         _ZN7rocprim17ROCPRIM_400000_NS6detail17trampoline_kernelINS0_14default_configENS1_22reduce_config_selectorIfEEZNS1_11reduce_implILb1ES3_N6thrust23THRUST_200600_302600_NS11hip_rocprim26transform_input_iterator_tIfNS8_17counting_iteratorIiNS8_11use_defaultESC_SC_EE11estimate_piEEPffNS8_4plusIfEEEE10hipError_tPvRmT1_T2_T3_mT4_P12ihipStream_tbEUlT_E1_NS1_11comp_targetILNS1_3genE4ELNS1_11target_archE910ELNS1_3gpuE8ELNS1_3repE0EEENS1_30default_config_static_selectorELNS0_4arch9wavefront6targetE0EEEvSM_.kd
    .uniform_work_group_size: 1
    .uses_dynamic_stack: false
    .vgpr_count:     0
    .vgpr_spill_count: 0
    .wavefront_size: 32
    .workgroup_processor_mode: 1
  - .args:
      - .offset:         0
        .size:           40
        .value_kind:     by_value
    .group_segment_fixed_size: 0
    .kernarg_segment_align: 8
    .kernarg_segment_size: 40
    .language:       OpenCL C
    .language_version:
      - 2
      - 0
    .max_flat_workgroup_size: 256
    .name:           _ZN7rocprim17ROCPRIM_400000_NS6detail17trampoline_kernelINS0_14default_configENS1_22reduce_config_selectorIfEEZNS1_11reduce_implILb1ES3_N6thrust23THRUST_200600_302600_NS11hip_rocprim26transform_input_iterator_tIfNS8_17counting_iteratorIiNS8_11use_defaultESC_SC_EE11estimate_piEEPffNS8_4plusIfEEEE10hipError_tPvRmT1_T2_T3_mT4_P12ihipStream_tbEUlT_E1_NS1_11comp_targetILNS1_3genE3ELNS1_11target_archE908ELNS1_3gpuE7ELNS1_3repE0EEENS1_30default_config_static_selectorELNS0_4arch9wavefront6targetE0EEEvSM_
    .private_segment_fixed_size: 0
    .sgpr_count:     0
    .sgpr_spill_count: 0
    .symbol:         _ZN7rocprim17ROCPRIM_400000_NS6detail17trampoline_kernelINS0_14default_configENS1_22reduce_config_selectorIfEEZNS1_11reduce_implILb1ES3_N6thrust23THRUST_200600_302600_NS11hip_rocprim26transform_input_iterator_tIfNS8_17counting_iteratorIiNS8_11use_defaultESC_SC_EE11estimate_piEEPffNS8_4plusIfEEEE10hipError_tPvRmT1_T2_T3_mT4_P12ihipStream_tbEUlT_E1_NS1_11comp_targetILNS1_3genE3ELNS1_11target_archE908ELNS1_3gpuE7ELNS1_3repE0EEENS1_30default_config_static_selectorELNS0_4arch9wavefront6targetE0EEEvSM_.kd
    .uniform_work_group_size: 1
    .uses_dynamic_stack: false
    .vgpr_count:     0
    .vgpr_spill_count: 0
    .wavefront_size: 32
    .workgroup_processor_mode: 1
  - .args:
      - .offset:         0
        .size:           40
        .value_kind:     by_value
    .group_segment_fixed_size: 0
    .kernarg_segment_align: 8
    .kernarg_segment_size: 40
    .language:       OpenCL C
    .language_version:
      - 2
      - 0
    .max_flat_workgroup_size: 256
    .name:           _ZN7rocprim17ROCPRIM_400000_NS6detail17trampoline_kernelINS0_14default_configENS1_22reduce_config_selectorIfEEZNS1_11reduce_implILb1ES3_N6thrust23THRUST_200600_302600_NS11hip_rocprim26transform_input_iterator_tIfNS8_17counting_iteratorIiNS8_11use_defaultESC_SC_EE11estimate_piEEPffNS8_4plusIfEEEE10hipError_tPvRmT1_T2_T3_mT4_P12ihipStream_tbEUlT_E1_NS1_11comp_targetILNS1_3genE2ELNS1_11target_archE906ELNS1_3gpuE6ELNS1_3repE0EEENS1_30default_config_static_selectorELNS0_4arch9wavefront6targetE0EEEvSM_
    .private_segment_fixed_size: 0
    .sgpr_count:     0
    .sgpr_spill_count: 0
    .symbol:         _ZN7rocprim17ROCPRIM_400000_NS6detail17trampoline_kernelINS0_14default_configENS1_22reduce_config_selectorIfEEZNS1_11reduce_implILb1ES3_N6thrust23THRUST_200600_302600_NS11hip_rocprim26transform_input_iterator_tIfNS8_17counting_iteratorIiNS8_11use_defaultESC_SC_EE11estimate_piEEPffNS8_4plusIfEEEE10hipError_tPvRmT1_T2_T3_mT4_P12ihipStream_tbEUlT_E1_NS1_11comp_targetILNS1_3genE2ELNS1_11target_archE906ELNS1_3gpuE6ELNS1_3repE0EEENS1_30default_config_static_selectorELNS0_4arch9wavefront6targetE0EEEvSM_.kd
    .uniform_work_group_size: 1
    .uses_dynamic_stack: false
    .vgpr_count:     0
    .vgpr_spill_count: 0
    .wavefront_size: 32
    .workgroup_processor_mode: 1
  - .args:
      - .offset:         0
        .size:           40
        .value_kind:     by_value
    .group_segment_fixed_size: 0
    .kernarg_segment_align: 8
    .kernarg_segment_size: 40
    .language:       OpenCL C
    .language_version:
      - 2
      - 0
    .max_flat_workgroup_size: 256
    .name:           _ZN7rocprim17ROCPRIM_400000_NS6detail17trampoline_kernelINS0_14default_configENS1_22reduce_config_selectorIfEEZNS1_11reduce_implILb1ES3_N6thrust23THRUST_200600_302600_NS11hip_rocprim26transform_input_iterator_tIfNS8_17counting_iteratorIiNS8_11use_defaultESC_SC_EE11estimate_piEEPffNS8_4plusIfEEEE10hipError_tPvRmT1_T2_T3_mT4_P12ihipStream_tbEUlT_E1_NS1_11comp_targetILNS1_3genE10ELNS1_11target_archE1201ELNS1_3gpuE5ELNS1_3repE0EEENS1_30default_config_static_selectorELNS0_4arch9wavefront6targetE0EEEvSM_
    .private_segment_fixed_size: 0
    .sgpr_count:     0
    .sgpr_spill_count: 0
    .symbol:         _ZN7rocprim17ROCPRIM_400000_NS6detail17trampoline_kernelINS0_14default_configENS1_22reduce_config_selectorIfEEZNS1_11reduce_implILb1ES3_N6thrust23THRUST_200600_302600_NS11hip_rocprim26transform_input_iterator_tIfNS8_17counting_iteratorIiNS8_11use_defaultESC_SC_EE11estimate_piEEPffNS8_4plusIfEEEE10hipError_tPvRmT1_T2_T3_mT4_P12ihipStream_tbEUlT_E1_NS1_11comp_targetILNS1_3genE10ELNS1_11target_archE1201ELNS1_3gpuE5ELNS1_3repE0EEENS1_30default_config_static_selectorELNS0_4arch9wavefront6targetE0EEEvSM_.kd
    .uniform_work_group_size: 1
    .uses_dynamic_stack: false
    .vgpr_count:     0
    .vgpr_spill_count: 0
    .wavefront_size: 32
    .workgroup_processor_mode: 1
  - .args:
      - .offset:         0
        .size:           40
        .value_kind:     by_value
    .group_segment_fixed_size: 0
    .kernarg_segment_align: 8
    .kernarg_segment_size: 40
    .language:       OpenCL C
    .language_version:
      - 2
      - 0
    .max_flat_workgroup_size: 256
    .name:           _ZN7rocprim17ROCPRIM_400000_NS6detail17trampoline_kernelINS0_14default_configENS1_22reduce_config_selectorIfEEZNS1_11reduce_implILb1ES3_N6thrust23THRUST_200600_302600_NS11hip_rocprim26transform_input_iterator_tIfNS8_17counting_iteratorIiNS8_11use_defaultESC_SC_EE11estimate_piEEPffNS8_4plusIfEEEE10hipError_tPvRmT1_T2_T3_mT4_P12ihipStream_tbEUlT_E1_NS1_11comp_targetILNS1_3genE10ELNS1_11target_archE1200ELNS1_3gpuE4ELNS1_3repE0EEENS1_30default_config_static_selectorELNS0_4arch9wavefront6targetE0EEEvSM_
    .private_segment_fixed_size: 0
    .sgpr_count:     0
    .sgpr_spill_count: 0
    .symbol:         _ZN7rocprim17ROCPRIM_400000_NS6detail17trampoline_kernelINS0_14default_configENS1_22reduce_config_selectorIfEEZNS1_11reduce_implILb1ES3_N6thrust23THRUST_200600_302600_NS11hip_rocprim26transform_input_iterator_tIfNS8_17counting_iteratorIiNS8_11use_defaultESC_SC_EE11estimate_piEEPffNS8_4plusIfEEEE10hipError_tPvRmT1_T2_T3_mT4_P12ihipStream_tbEUlT_E1_NS1_11comp_targetILNS1_3genE10ELNS1_11target_archE1200ELNS1_3gpuE4ELNS1_3repE0EEENS1_30default_config_static_selectorELNS0_4arch9wavefront6targetE0EEEvSM_.kd
    .uniform_work_group_size: 1
    .uses_dynamic_stack: false
    .vgpr_count:     0
    .vgpr_spill_count: 0
    .wavefront_size: 32
    .workgroup_processor_mode: 1
  - .args:
      - .offset:         0
        .size:           40
        .value_kind:     by_value
    .group_segment_fixed_size: 0
    .kernarg_segment_align: 8
    .kernarg_segment_size: 40
    .language:       OpenCL C
    .language_version:
      - 2
      - 0
    .max_flat_workgroup_size: 256
    .name:           _ZN7rocprim17ROCPRIM_400000_NS6detail17trampoline_kernelINS0_14default_configENS1_22reduce_config_selectorIfEEZNS1_11reduce_implILb1ES3_N6thrust23THRUST_200600_302600_NS11hip_rocprim26transform_input_iterator_tIfNS8_17counting_iteratorIiNS8_11use_defaultESC_SC_EE11estimate_piEEPffNS8_4plusIfEEEE10hipError_tPvRmT1_T2_T3_mT4_P12ihipStream_tbEUlT_E1_NS1_11comp_targetILNS1_3genE9ELNS1_11target_archE1100ELNS1_3gpuE3ELNS1_3repE0EEENS1_30default_config_static_selectorELNS0_4arch9wavefront6targetE0EEEvSM_
    .private_segment_fixed_size: 0
    .sgpr_count:     0
    .sgpr_spill_count: 0
    .symbol:         _ZN7rocprim17ROCPRIM_400000_NS6detail17trampoline_kernelINS0_14default_configENS1_22reduce_config_selectorIfEEZNS1_11reduce_implILb1ES3_N6thrust23THRUST_200600_302600_NS11hip_rocprim26transform_input_iterator_tIfNS8_17counting_iteratorIiNS8_11use_defaultESC_SC_EE11estimate_piEEPffNS8_4plusIfEEEE10hipError_tPvRmT1_T2_T3_mT4_P12ihipStream_tbEUlT_E1_NS1_11comp_targetILNS1_3genE9ELNS1_11target_archE1100ELNS1_3gpuE3ELNS1_3repE0EEENS1_30default_config_static_selectorELNS0_4arch9wavefront6targetE0EEEvSM_.kd
    .uniform_work_group_size: 1
    .uses_dynamic_stack: false
    .vgpr_count:     0
    .vgpr_spill_count: 0
    .wavefront_size: 32
    .workgroup_processor_mode: 1
  - .args:
      - .offset:         0
        .size:           40
        .value_kind:     by_value
    .group_segment_fixed_size: 224
    .kernarg_segment_align: 8
    .kernarg_segment_size: 40
    .language:       OpenCL C
    .language_version:
      - 2
      - 0
    .max_flat_workgroup_size: 256
    .name:           _ZN7rocprim17ROCPRIM_400000_NS6detail17trampoline_kernelINS0_14default_configENS1_22reduce_config_selectorIfEEZNS1_11reduce_implILb1ES3_N6thrust23THRUST_200600_302600_NS11hip_rocprim26transform_input_iterator_tIfNS8_17counting_iteratorIiNS8_11use_defaultESC_SC_EE11estimate_piEEPffNS8_4plusIfEEEE10hipError_tPvRmT1_T2_T3_mT4_P12ihipStream_tbEUlT_E1_NS1_11comp_targetILNS1_3genE8ELNS1_11target_archE1030ELNS1_3gpuE2ELNS1_3repE0EEENS1_30default_config_static_selectorELNS0_4arch9wavefront6targetE0EEEvSM_
    .private_segment_fixed_size: 0
    .sgpr_count:     50
    .sgpr_spill_count: 0
    .symbol:         _ZN7rocprim17ROCPRIM_400000_NS6detail17trampoline_kernelINS0_14default_configENS1_22reduce_config_selectorIfEEZNS1_11reduce_implILb1ES3_N6thrust23THRUST_200600_302600_NS11hip_rocprim26transform_input_iterator_tIfNS8_17counting_iteratorIiNS8_11use_defaultESC_SC_EE11estimate_piEEPffNS8_4plusIfEEEE10hipError_tPvRmT1_T2_T3_mT4_P12ihipStream_tbEUlT_E1_NS1_11comp_targetILNS1_3genE8ELNS1_11target_archE1030ELNS1_3gpuE2ELNS1_3repE0EEENS1_30default_config_static_selectorELNS0_4arch9wavefront6targetE0EEEvSM_.kd
    .uniform_work_group_size: 1
    .uses_dynamic_stack: false
    .vgpr_count:     62
    .vgpr_spill_count: 0
    .wavefront_size: 32
    .workgroup_processor_mode: 1
amdhsa.target:   amdgcn-amd-amdhsa--gfx1030
amdhsa.version:
  - 1
  - 2
...

	.end_amdgpu_metadata
